;; amdgpu-corpus repo=ROCm/rocFFT kind=compiled arch=gfx906 opt=O3
	.text
	.amdgcn_target "amdgcn-amd-amdhsa--gfx906"
	.amdhsa_code_object_version 6
	.protected	fft_rtc_back_len924_factors_2_2_3_7_11_wgs_44_tpt_44_halfLds_dp_ip_CI_sbrr_dirReg ; -- Begin function fft_rtc_back_len924_factors_2_2_3_7_11_wgs_44_tpt_44_halfLds_dp_ip_CI_sbrr_dirReg
	.globl	fft_rtc_back_len924_factors_2_2_3_7_11_wgs_44_tpt_44_halfLds_dp_ip_CI_sbrr_dirReg
	.p2align	8
	.type	fft_rtc_back_len924_factors_2_2_3_7_11_wgs_44_tpt_44_halfLds_dp_ip_CI_sbrr_dirReg,@function
fft_rtc_back_len924_factors_2_2_3_7_11_wgs_44_tpt_44_halfLds_dp_ip_CI_sbrr_dirReg: ; @fft_rtc_back_len924_factors_2_2_3_7_11_wgs_44_tpt_44_halfLds_dp_ip_CI_sbrr_dirReg
; %bb.0:
	s_load_dwordx2 s[14:15], s[4:5], 0x18
	s_load_dwordx4 s[8:11], s[4:5], 0x0
	s_load_dwordx2 s[12:13], s[4:5], 0x50
	v_mul_u32_u24_e32 v1, 0x5d2, v0
	v_add_u32_sdwa v5, s6, v1 dst_sel:DWORD dst_unused:UNUSED_PAD src0_sel:DWORD src1_sel:WORD_1
	s_waitcnt lgkmcnt(0)
	s_load_dwordx2 s[2:3], s[14:15], 0x0
	v_cmp_lt_u64_e64 s[0:1], s[10:11], 2
	v_mov_b32_e32 v3, 0
	v_mov_b32_e32 v1, 0
	;; [unrolled: 1-line block ×3, first 2 shown]
	s_and_b64 vcc, exec, s[0:1]
	v_mov_b32_e32 v2, 0
	s_cbranch_vccnz .LBB0_8
; %bb.1:
	s_load_dwordx2 s[0:1], s[4:5], 0x10
	s_add_u32 s6, s14, 8
	s_addc_u32 s7, s15, 0
	v_mov_b32_e32 v1, 0
	v_mov_b32_e32 v2, 0
	s_waitcnt lgkmcnt(0)
	s_add_u32 s16, s0, 8
	s_addc_u32 s17, s1, 0
	s_mov_b64 s[18:19], 1
.LBB0_2:                                ; =>This Inner Loop Header: Depth=1
	s_load_dwordx2 s[20:21], s[16:17], 0x0
                                        ; implicit-def: $vgpr7_vgpr8
	s_waitcnt lgkmcnt(0)
	v_or_b32_e32 v4, s21, v6
	v_cmp_ne_u64_e32 vcc, 0, v[3:4]
	s_and_saveexec_b64 s[0:1], vcc
	s_xor_b64 s[22:23], exec, s[0:1]
	s_cbranch_execz .LBB0_4
; %bb.3:                                ;   in Loop: Header=BB0_2 Depth=1
	v_cvt_f32_u32_e32 v4, s20
	v_cvt_f32_u32_e32 v7, s21
	s_sub_u32 s0, 0, s20
	s_subb_u32 s1, 0, s21
	v_mac_f32_e32 v4, 0x4f800000, v7
	v_rcp_f32_e32 v4, v4
	v_mul_f32_e32 v4, 0x5f7ffffc, v4
	v_mul_f32_e32 v7, 0x2f800000, v4
	v_trunc_f32_e32 v7, v7
	v_mac_f32_e32 v4, 0xcf800000, v7
	v_cvt_u32_f32_e32 v7, v7
	v_cvt_u32_f32_e32 v4, v4
	v_mul_lo_u32 v8, s0, v7
	v_mul_hi_u32 v9, s0, v4
	v_mul_lo_u32 v11, s1, v4
	v_mul_lo_u32 v10, s0, v4
	v_add_u32_e32 v8, v9, v8
	v_add_u32_e32 v8, v8, v11
	v_mul_hi_u32 v9, v4, v10
	v_mul_lo_u32 v11, v4, v8
	v_mul_hi_u32 v13, v4, v8
	v_mul_hi_u32 v12, v7, v10
	v_mul_lo_u32 v10, v7, v10
	v_mul_hi_u32 v14, v7, v8
	v_add_co_u32_e32 v9, vcc, v9, v11
	v_addc_co_u32_e32 v11, vcc, 0, v13, vcc
	v_mul_lo_u32 v8, v7, v8
	v_add_co_u32_e32 v9, vcc, v9, v10
	v_addc_co_u32_e32 v9, vcc, v11, v12, vcc
	v_addc_co_u32_e32 v10, vcc, 0, v14, vcc
	v_add_co_u32_e32 v8, vcc, v9, v8
	v_addc_co_u32_e32 v9, vcc, 0, v10, vcc
	v_add_co_u32_e32 v4, vcc, v4, v8
	v_addc_co_u32_e32 v7, vcc, v7, v9, vcc
	v_mul_lo_u32 v8, s0, v7
	v_mul_hi_u32 v9, s0, v4
	v_mul_lo_u32 v10, s1, v4
	v_mul_lo_u32 v11, s0, v4
	v_add_u32_e32 v8, v9, v8
	v_add_u32_e32 v8, v8, v10
	v_mul_lo_u32 v12, v4, v8
	v_mul_hi_u32 v13, v4, v11
	v_mul_hi_u32 v14, v4, v8
	;; [unrolled: 1-line block ×3, first 2 shown]
	v_mul_lo_u32 v11, v7, v11
	v_mul_hi_u32 v9, v7, v8
	v_add_co_u32_e32 v12, vcc, v13, v12
	v_addc_co_u32_e32 v13, vcc, 0, v14, vcc
	v_mul_lo_u32 v8, v7, v8
	v_add_co_u32_e32 v11, vcc, v12, v11
	v_addc_co_u32_e32 v10, vcc, v13, v10, vcc
	v_addc_co_u32_e32 v9, vcc, 0, v9, vcc
	v_add_co_u32_e32 v8, vcc, v10, v8
	v_addc_co_u32_e32 v9, vcc, 0, v9, vcc
	v_add_co_u32_e32 v4, vcc, v4, v8
	v_addc_co_u32_e32 v9, vcc, v7, v9, vcc
	v_mad_u64_u32 v[7:8], s[0:1], v5, v9, 0
	v_mul_hi_u32 v10, v5, v4
	v_add_co_u32_e32 v11, vcc, v10, v7
	v_addc_co_u32_e32 v12, vcc, 0, v8, vcc
	v_mad_u64_u32 v[7:8], s[0:1], v6, v4, 0
	v_mad_u64_u32 v[9:10], s[0:1], v6, v9, 0
	v_add_co_u32_e32 v4, vcc, v11, v7
	v_addc_co_u32_e32 v4, vcc, v12, v8, vcc
	v_addc_co_u32_e32 v7, vcc, 0, v10, vcc
	v_add_co_u32_e32 v4, vcc, v4, v9
	v_addc_co_u32_e32 v9, vcc, 0, v7, vcc
	v_mul_lo_u32 v10, s21, v4
	v_mul_lo_u32 v11, s20, v9
	v_mad_u64_u32 v[7:8], s[0:1], s20, v4, 0
	v_add3_u32 v8, v8, v11, v10
	v_sub_u32_e32 v10, v6, v8
	v_mov_b32_e32 v11, s21
	v_sub_co_u32_e32 v7, vcc, v5, v7
	v_subb_co_u32_e64 v10, s[0:1], v10, v11, vcc
	v_subrev_co_u32_e64 v11, s[0:1], s20, v7
	v_subbrev_co_u32_e64 v10, s[0:1], 0, v10, s[0:1]
	v_cmp_le_u32_e64 s[0:1], s21, v10
	v_cndmask_b32_e64 v12, 0, -1, s[0:1]
	v_cmp_le_u32_e64 s[0:1], s20, v11
	v_cndmask_b32_e64 v11, 0, -1, s[0:1]
	v_cmp_eq_u32_e64 s[0:1], s21, v10
	v_cndmask_b32_e64 v10, v12, v11, s[0:1]
	v_add_co_u32_e64 v11, s[0:1], 2, v4
	v_addc_co_u32_e64 v12, s[0:1], 0, v9, s[0:1]
	v_add_co_u32_e64 v13, s[0:1], 1, v4
	v_addc_co_u32_e64 v14, s[0:1], 0, v9, s[0:1]
	v_subb_co_u32_e32 v8, vcc, v6, v8, vcc
	v_cmp_ne_u32_e64 s[0:1], 0, v10
	v_cmp_le_u32_e32 vcc, s21, v8
	v_cndmask_b32_e64 v10, v14, v12, s[0:1]
	v_cndmask_b32_e64 v12, 0, -1, vcc
	v_cmp_le_u32_e32 vcc, s20, v7
	v_cndmask_b32_e64 v7, 0, -1, vcc
	v_cmp_eq_u32_e32 vcc, s21, v8
	v_cndmask_b32_e32 v7, v12, v7, vcc
	v_cmp_ne_u32_e32 vcc, 0, v7
	v_cndmask_b32_e64 v7, v13, v11, s[0:1]
	v_cndmask_b32_e32 v8, v9, v10, vcc
	v_cndmask_b32_e32 v7, v4, v7, vcc
.LBB0_4:                                ;   in Loop: Header=BB0_2 Depth=1
	s_andn2_saveexec_b64 s[0:1], s[22:23]
	s_cbranch_execz .LBB0_6
; %bb.5:                                ;   in Loop: Header=BB0_2 Depth=1
	v_cvt_f32_u32_e32 v4, s20
	s_sub_i32 s22, 0, s20
	v_rcp_iflag_f32_e32 v4, v4
	v_mul_f32_e32 v4, 0x4f7ffffe, v4
	v_cvt_u32_f32_e32 v4, v4
	v_mul_lo_u32 v7, s22, v4
	v_mul_hi_u32 v7, v4, v7
	v_add_u32_e32 v4, v4, v7
	v_mul_hi_u32 v4, v5, v4
	v_mul_lo_u32 v7, v4, s20
	v_add_u32_e32 v8, 1, v4
	v_sub_u32_e32 v7, v5, v7
	v_subrev_u32_e32 v9, s20, v7
	v_cmp_le_u32_e32 vcc, s20, v7
	v_cndmask_b32_e32 v7, v7, v9, vcc
	v_cndmask_b32_e32 v4, v4, v8, vcc
	v_add_u32_e32 v8, 1, v4
	v_cmp_le_u32_e32 vcc, s20, v7
	v_cndmask_b32_e32 v7, v4, v8, vcc
	v_mov_b32_e32 v8, v3
.LBB0_6:                                ;   in Loop: Header=BB0_2 Depth=1
	s_or_b64 exec, exec, s[0:1]
	v_mul_lo_u32 v4, v8, s20
	v_mul_lo_u32 v11, v7, s21
	v_mad_u64_u32 v[9:10], s[0:1], v7, s20, 0
	s_load_dwordx2 s[0:1], s[6:7], 0x0
	s_add_u32 s18, s18, 1
	v_add3_u32 v4, v10, v11, v4
	v_sub_co_u32_e32 v5, vcc, v5, v9
	v_subb_co_u32_e32 v4, vcc, v6, v4, vcc
	s_waitcnt lgkmcnt(0)
	v_mul_lo_u32 v4, s0, v4
	v_mul_lo_u32 v6, s1, v5
	v_mad_u64_u32 v[1:2], s[0:1], s0, v5, v[1:2]
	s_addc_u32 s19, s19, 0
	s_add_u32 s6, s6, 8
	v_add3_u32 v2, v6, v2, v4
	v_mov_b32_e32 v4, s10
	v_mov_b32_e32 v5, s11
	s_addc_u32 s7, s7, 0
	v_cmp_ge_u64_e32 vcc, s[18:19], v[4:5]
	s_add_u32 s16, s16, 8
	s_addc_u32 s17, s17, 0
	s_cbranch_vccnz .LBB0_9
; %bb.7:                                ;   in Loop: Header=BB0_2 Depth=1
	v_mov_b32_e32 v5, v7
	v_mov_b32_e32 v6, v8
	s_branch .LBB0_2
.LBB0_8:
	v_mov_b32_e32 v8, v6
	v_mov_b32_e32 v7, v5
.LBB0_9:
	s_lshl_b64 s[0:1], s[10:11], 3
	s_add_u32 s0, s14, s0
	s_addc_u32 s1, s15, s1
	s_load_dwordx2 s[6:7], s[0:1], 0x0
	s_load_dwordx2 s[10:11], s[4:5], 0x20
                                        ; implicit-def: $vgpr127
                                        ; implicit-def: $vgpr114
                                        ; implicit-def: $vgpr115
                                        ; implicit-def: $vgpr116
                                        ; implicit-def: $vgpr117
                                        ; implicit-def: $vgpr118
                                        ; implicit-def: $vgpr119
                                        ; implicit-def: $vgpr120
                                        ; implicit-def: $vgpr121
	s_waitcnt lgkmcnt(0)
	v_mad_u64_u32 v[1:2], s[0:1], s6, v7, v[1:2]
	s_mov_b32 s0, 0x5d1745e
	v_mul_lo_u32 v3, s6, v8
	v_mul_lo_u32 v4, s7, v7
	v_mul_hi_u32 v5, v0, s0
	v_cmp_gt_u64_e32 vcc, s[10:11], v[7:8]
	v_cmp_le_u64_e64 s[0:1], s[10:11], v[7:8]
	v_add3_u32 v2, v4, v2, v3
	v_mul_u32_u24_e32 v3, 44, v5
	v_sub_u32_e32 v126, v0, v3
	s_and_saveexec_b64 s[4:5], s[0:1]
	s_xor_b64 s[0:1], exec, s[4:5]
; %bb.10:
	v_add_u32_e32 v127, 44, v126
	v_add_u32_e32 v114, 0x58, v126
	v_add_u32_e32 v115, 0x84, v126
	v_add_u32_e32 v116, 0xb0, v126
	v_add_u32_e32 v117, 0xdc, v126
	v_add_u32_e32 v118, 0x108, v126
	v_add_u32_e32 v119, 0x134, v126
	v_add_u32_e32 v120, 0x160, v126
	v_add_u32_e32 v121, 0x18c, v126
; %bb.11:
	s_or_saveexec_b64 s[4:5], s[0:1]
	v_lshlrev_b64 v[112:113], 4, v[1:2]
                                        ; implicit-def: $vgpr86_vgpr87
                                        ; implicit-def: $vgpr70_vgpr71
                                        ; implicit-def: $vgpr34_vgpr35
                                        ; implicit-def: $vgpr26_vgpr27
                                        ; implicit-def: $vgpr42_vgpr43
                                        ; implicit-def: $vgpr2_vgpr3
                                        ; implicit-def: $vgpr30_vgpr31
                                        ; implicit-def: $vgpr6_vgpr7
                                        ; implicit-def: $vgpr38_vgpr39
                                        ; implicit-def: $vgpr10_vgpr11
                                        ; implicit-def: $vgpr46_vgpr47
                                        ; implicit-def: $vgpr14_vgpr15
                                        ; implicit-def: $vgpr54_vgpr55
                                        ; implicit-def: $vgpr18_vgpr19
                                        ; implicit-def: $vgpr58_vgpr59
                                        ; implicit-def: $vgpr22_vgpr23
                                        ; implicit-def: $vgpr78_vgpr79
                                        ; implicit-def: $vgpr62_vgpr63
                                        ; implicit-def: $vgpr82_vgpr83
                                        ; implicit-def: $vgpr66_vgpr67
                                        ; implicit-def: $vgpr74_vgpr75
                                        ; implicit-def: $vgpr50_vgpr51
	s_xor_b64 exec, exec, s[4:5]
	s_cbranch_execz .LBB0_15
; %bb.12:
	v_mad_u64_u32 v[0:1], s[0:1], s2, v126, 0
	v_add_u32_e32 v5, 0x1ce, v126
	v_mov_b32_e32 v4, s13
	v_mad_u64_u32 v[1:2], s[0:1], s3, v126, v[1:2]
	v_mad_u64_u32 v[2:3], s[0:1], s2, v5, 0
	v_add_co_u32_e64 v70, s[0:1], s12, v112
	v_addc_co_u32_e64 v71, s[0:1], v4, v113, s[0:1]
	v_mad_u64_u32 v[3:4], s[0:1], s3, v5, v[3:4]
	v_add_u32_e32 v127, 44, v126
	v_mad_u64_u32 v[4:5], s[0:1], s2, v127, 0
	v_lshlrev_b64 v[0:1], 4, v[0:1]
	v_add_u32_e32 v8, 0x1fa, v126
	v_add_co_u32_e64 v0, s[0:1], v70, v0
	v_addc_co_u32_e64 v1, s[0:1], v71, v1, s[0:1]
	v_mad_u64_u32 v[5:6], s[0:1], s3, v127, v[5:6]
	v_mad_u64_u32 v[6:7], s[0:1], s2, v8, 0
	v_lshlrev_b64 v[2:3], 4, v[2:3]
	v_add_u32_e32 v114, 0x58, v126
	v_add_co_u32_e64 v2, s[0:1], v70, v2
	v_addc_co_u32_e64 v3, s[0:1], v71, v3, s[0:1]
	v_mad_u64_u32 v[7:8], s[0:1], s3, v8, v[7:8]
	v_mad_u64_u32 v[8:9], s[0:1], s2, v114, 0
	v_lshlrev_b64 v[4:5], 4, v[4:5]
	v_add_u32_e32 v115, 0x84, v126
	v_add_co_u32_e64 v24, s[0:1], v70, v4
	v_addc_co_u32_e64 v25, s[0:1], v71, v5, s[0:1]
	v_lshlrev_b64 v[4:5], 4, v[6:7]
	v_mov_b32_e32 v6, v9
	v_mad_u64_u32 v[6:7], s[0:1], s3, v114, v[6:7]
	v_add_u32_e32 v7, 0x226, v126
	v_mad_u64_u32 v[10:11], s[0:1], s2, v7, 0
	v_add_co_u32_e64 v26, s[0:1], v70, v4
	v_mov_b32_e32 v9, v6
	v_mov_b32_e32 v6, v11
	v_addc_co_u32_e64 v27, s[0:1], v71, v5, s[0:1]
	v_mad_u64_u32 v[6:7], s[0:1], s3, v7, v[6:7]
	v_lshlrev_b64 v[4:5], 4, v[8:9]
	v_mad_u64_u32 v[7:8], s[0:1], s2, v115, 0
	v_add_co_u32_e64 v32, s[0:1], v70, v4
	v_mov_b32_e32 v11, v6
	v_mov_b32_e32 v6, v8
	v_addc_co_u32_e64 v33, s[0:1], v71, v5, s[0:1]
	v_lshlrev_b64 v[4:5], 4, v[10:11]
	v_mad_u64_u32 v[8:9], s[0:1], s3, v115, v[6:7]
	v_add_u32_e32 v11, 0x252, v126
	v_mad_u64_u32 v[9:10], s[0:1], s2, v11, 0
	v_add_co_u32_e64 v34, s[0:1], v70, v4
	v_mov_b32_e32 v6, v10
	v_addc_co_u32_e64 v35, s[0:1], v71, v5, s[0:1]
	v_lshlrev_b64 v[4:5], 4, v[7:8]
	v_mad_u64_u32 v[6:7], s[0:1], s3, v11, v[6:7]
	v_add_u32_e32 v116, 0xb0, v126
	v_mad_u64_u32 v[7:8], s[0:1], s2, v116, 0
	v_add_co_u32_e64 v40, s[0:1], v70, v4
	v_mov_b32_e32 v10, v6
	v_mov_b32_e32 v6, v8
	v_addc_co_u32_e64 v41, s[0:1], v71, v5, s[0:1]
	v_lshlrev_b64 v[4:5], 4, v[9:10]
	v_mad_u64_u32 v[8:9], s[0:1], s3, v116, v[6:7]
	v_add_u32_e32 v11, 0x27e, v126
	v_mad_u64_u32 v[9:10], s[0:1], s2, v11, 0
	v_add_co_u32_e64 v42, s[0:1], v70, v4
	v_mov_b32_e32 v6, v10
	v_addc_co_u32_e64 v43, s[0:1], v71, v5, s[0:1]
	v_lshlrev_b64 v[4:5], 4, v[7:8]
	v_mad_u64_u32 v[6:7], s[0:1], s3, v11, v[6:7]
	v_add_u32_e32 v117, 0xdc, v126
	;; [unrolled: 15-line block ×6, first 2 shown]
	v_mad_u64_u32 v[7:8], s[0:1], s2, v121, 0
	v_add_co_u32_e64 v98, s[0:1], v70, v4
	v_mov_b32_e32 v10, v6
	v_mov_b32_e32 v6, v8
	v_addc_co_u32_e64 v99, s[0:1], v71, v5, s[0:1]
	v_lshlrev_b64 v[4:5], 4, v[9:10]
	v_mad_u64_u32 v[8:9], s[0:1], s3, v121, v[6:7]
	v_add_u32_e32 v11, 0x35a, v126
	v_mad_u64_u32 v[9:10], s[0:1], s2, v11, 0
	v_add_co_u32_e64 v100, s[0:1], v70, v4
	v_mov_b32_e32 v6, v10
	v_addc_co_u32_e64 v101, s[0:1], v71, v5, s[0:1]
	v_lshlrev_b64 v[4:5], 4, v[7:8]
	v_mad_u64_u32 v[6:7], s[0:1], s3, v11, v[6:7]
	v_add_co_u32_e64 v102, s[0:1], v70, v4
	v_mov_b32_e32 v10, v6
	global_load_dwordx4 v[48:51], v[0:1], off
	global_load_dwordx4 v[72:75], v[2:3], off
	v_lshlrev_b64 v[0:1], 4, v[9:10]
	v_addc_co_u32_e64 v103, s[0:1], v71, v5, s[0:1]
	v_add_co_u32_e64 v104, s[0:1], v70, v0
	v_addc_co_u32_e64 v105, s[0:1], v71, v1, s[0:1]
	global_load_dwordx4 v[64:67], v[24:25], off
	global_load_dwordx4 v[80:83], v[26:27], off
	;; [unrolled: 1-line block ×15, first 2 shown]
                                        ; kill: killed $vgpr42 killed $vgpr43
                                        ; kill: killed $vgpr98 killed $vgpr99
                                        ; kill: killed $vgpr32 killed $vgpr33
                                        ; kill: killed $vgpr34 killed $vgpr35
                                        ; kill: killed $vgpr94 killed $vgpr95
                                        ; kill: killed $vgpr24 killed $vgpr25
                                        ; kill: killed $vgpr96 killed $vgpr97
                                        ; kill: killed $vgpr26 killed $vgpr27
                                        ; kill: killed $vgpr90 killed $vgpr91
                                        ; kill: killed $vgpr92 killed $vgpr93
                                        ; kill: killed $vgpr86 killed $vgpr87
                                        ; kill: killed $vgpr88 killed $vgpr89
                                        ; kill: killed $vgpr68 killed $vgpr69
                                        ; kill: killed $vgpr84 killed $vgpr85
                                        ; kill: killed $vgpr40 killed $vgpr41
	global_load_dwordx4 v[40:43], v[100:101], off
	global_load_dwordx4 v[24:27], v[102:103], off
	;; [unrolled: 1-line block ×3, first 2 shown]
	v_cmp_gt_u32_e64 s[0:1], 22, v126
                                        ; implicit-def: $vgpr68_vgpr69
                                        ; implicit-def: $vgpr84_vgpr85
	s_and_saveexec_b64 s[6:7], s[0:1]
	s_cbranch_execz .LBB0_14
; %bb.13:
	v_add_u32_e32 v86, 0x1b8, v126
	v_mad_u64_u32 v[68:69], s[0:1], s2, v86, 0
	v_add_u32_e32 v88, 0x386, v126
	v_mad_u64_u32 v[84:85], s[0:1], s2, v88, 0
	v_mad_u64_u32 v[86:87], s[0:1], s3, v86, v[69:70]
	v_mov_b32_e32 v69, v86
	v_mad_u64_u32 v[85:86], s[0:1], s3, v88, v[85:86]
	v_lshlrev_b64 v[68:69], 4, v[68:69]
	v_add_co_u32_e64 v88, s[0:1], v70, v68
	v_addc_co_u32_e64 v89, s[0:1], v71, v69, s[0:1]
	v_lshlrev_b64 v[68:69], 4, v[84:85]
	v_add_co_u32_e64 v90, s[0:1], v70, v68
	v_addc_co_u32_e64 v91, s[0:1], v71, v69, s[0:1]
	global_load_dwordx4 v[68:71], v[88:89], off
	global_load_dwordx4 v[84:87], v[90:91], off
.LBB0_14:
	s_or_b64 exec, exec, s[6:7]
.LBB0_15:
	s_or_b64 exec, exec, s[4:5]
	s_waitcnt vmcnt(18)
	v_add_f64 v[90:91], v[48:49], -v[72:73]
	s_waitcnt vmcnt(14)
	v_add_f64 v[98:99], v[60:61], -v[76:77]
	s_waitcnt vmcnt(12)
	v_add_f64 v[102:103], v[20:21], -v[56:57]
	v_add_f64 v[94:95], v[64:65], -v[80:81]
	s_waitcnt vmcnt(10)
	v_add_f64 v[106:107], v[16:17], -v[52:53]
	v_lshl_add_u32 v72, v126, 4, 0
	s_waitcnt vmcnt(8)
	v_add_f64 v[110:111], v[12:13], -v[44:45]
	s_waitcnt vmcnt(6)
	v_add_f64 v[124:125], v[8:9], -v[36:37]
	v_fma_f64 v[88:89], v[48:49], 2.0, -v[90:91]
	v_fma_f64 v[96:97], v[60:61], 2.0, -v[98:99]
	;; [unrolled: 1-line block ×5, first 2 shown]
	v_lshl_add_u32 v16, v114, 4, 0
	v_lshl_add_u32 v17, v115, 4, 0
	v_lshl_add_u32 v73, v127, 4, 0
	ds_write_b128 v72, v[88:91]
	ds_write_b128 v73, v[92:95]
	;; [unrolled: 1-line block ×3, first 2 shown]
	s_waitcnt vmcnt(4)
	v_add_f64 v[94:95], v[4:5], -v[28:29]
	ds_write_b128 v17, v[100:103]
	s_waitcnt vmcnt(2)
	v_add_f64 v[98:99], v[0:1], -v[40:41]
	s_waitcnt vmcnt(0)
	v_add_f64 v[102:103], v[24:25], -v[32:33]
	v_add_f64 v[90:91], v[68:69], -v[84:85]
	v_fma_f64 v[108:109], v[12:13], 2.0, -v[110:111]
	v_fma_f64 v[122:123], v[8:9], 2.0, -v[124:125]
	v_add_u32_e32 v76, 0x1b8, v126
	v_fma_f64 v[92:93], v[4:5], 2.0, -v[94:95]
	v_lshl_add_u32 v28, v116, 4, 0
	v_fma_f64 v[96:97], v[0:1], 2.0, -v[98:99]
	v_fma_f64 v[100:101], v[24:25], 2.0, -v[102:103]
	;; [unrolled: 1-line block ×3, first 2 shown]
	v_lshl_add_u32 v29, v117, 4, 0
	v_lshl_add_u32 v32, v118, 4, 0
	v_lshl_add_u32 v33, v119, 4, 0
	v_lshl_add_u32 v68, v120, 4, 0
	v_lshl_add_u32 v69, v121, 4, 0
	v_cmp_gt_u32_e64 s[0:1], 22, v126
	v_lshl_add_u32 v4, v76, 4, 0
	ds_write_b128 v28, v[104:107]
	ds_write_b128 v29, v[108:111]
	;; [unrolled: 1-line block ×6, first 2 shown]
	s_and_saveexec_b64 s[4:5], s[0:1]
	s_cbranch_execz .LBB0_17
; %bb.16:
	ds_write_b128 v4, v[88:91]
.LBB0_17:
	s_or_b64 exec, exec, s[4:5]
	v_lshl_add_u32 v128, v126, 3, 0
	v_lshlrev_b32_e32 v21, 3, v115
	v_add_u32_e32 v0, 0x800, v128
	v_lshlrev_b32_e32 v5, 3, v114
	v_add_u32_e32 v13, 0x1000, v128
	v_sub_u32_e32 v20, v17, v21
	s_waitcnt lgkmcnt(0)
	; wave barrier
	s_waitcnt lgkmcnt(0)
	ds_read2_b64 v[92:95], v0 offset0:206 offset1:250
	v_lshl_add_u32 v129, v127, 3, 0
	v_sub_u32_e32 v12, v16, v5
	ds_read2_b64 v[96:99], v13 offset0:38 offset1:82
	ds_read_b64 v[0:1], v128
	ds_read_b64 v[8:9], v129
	;; [unrolled: 1-line block ×4, first 2 shown]
	v_add_u32_e32 v20, 0x1400, v128
	v_lshlrev_b32_e32 v24, 3, v116
	ds_read2_b64 v[100:103], v13 offset0:126 offset1:170
	v_lshlrev_b32_e32 v12, 3, v117
	v_lshlrev_b32_e32 v13, 3, v118
	ds_read2_b64 v[104:107], v20 offset0:86 offset1:130
	v_lshlrev_b32_e32 v20, 3, v119
	v_sub_u32_e32 v25, v28, v24
	v_sub_u32_e32 v48, v29, v12
	;; [unrolled: 1-line block ×4, first 2 shown]
	ds_read_b64 v[44:45], v25
	ds_read_b64 v[48:49], v48
	;; [unrolled: 1-line block ×4, first 2 shown]
	v_lshlrev_b32_e32 v81, 3, v120
	v_lshlrev_b32_e32 v84, 3, v121
	v_sub_u32_e32 v25, v68, v81
	v_add_u32_e32 v60, 0x1800, v128
	v_sub_u32_e32 v64, v69, v84
	ds_read2_b64 v[108:111], v60 offset0:46 offset1:90
	ds_read_b64 v[60:61], v25
	ds_read_b64 v[64:65], v64
	s_and_saveexec_b64 s[4:5], s[0:1]
	s_cbranch_execz .LBB0_19
; %bb.18:
	ds_read_b64 v[88:89], v128 offset:3520
	ds_read_b64 v[90:91], v128 offset:7216
.LBB0_19:
	s_or_b64 exec, exec, s[4:5]
	v_add_f64 v[124:125], v[50:51], -v[74:75]
	v_sub_u32_e32 v75, 0, v12
	v_sub_u32_e32 v80, 0, v13
	v_add_f64 v[144:145], v[10:11], -v[38:39]
	v_add_f64 v[12:13], v[70:71], -v[86:87]
	;; [unrolled: 1-line block ×4, first 2 shown]
	v_sub_u32_e32 v78, 0, v84
	v_add_f64 v[83:84], v[22:23], -v[58:59]
	v_sub_u32_e32 v25, 0, v21
	v_sub_u32_e32 v77, 0, v20
	v_add_f64 v[20:21], v[18:19], -v[54:55]
	v_add_f64 v[140:141], v[14:15], -v[46:47]
	v_add_f64 v[148:149], v[6:7], -v[30:31]
	v_fma_f64 v[122:123], v[50:51], 2.0, -v[124:125]
	v_add_f64 v[152:153], v[2:3], -v[42:43]
	v_add_f64 v[156:157], v[26:27], -v[34:35]
	v_fma_f64 v[142:143], v[10:11], 2.0, -v[144:145]
	v_fma_f64 v[10:11], v[70:71], 2.0, -v[12:13]
	;; [unrolled: 1-line block ×4, first 2 shown]
	v_sub_u32_e32 v79, 0, v81
	v_fma_f64 v[81:82], v[22:23], 2.0, -v[83:84]
	v_fma_f64 v[18:19], v[18:19], 2.0, -v[20:21]
	;; [unrolled: 1-line block ×3, first 2 shown]
	v_sub_u32_e32 v5, 0, v5
	v_sub_u32_e32 v24, 0, v24
	v_fma_f64 v[146:147], v[6:7], 2.0, -v[148:149]
	v_fma_f64 v[150:151], v[2:3], 2.0, -v[152:153]
	v_fma_f64 v[154:155], v[26:27], 2.0, -v[156:157]
	s_waitcnt lgkmcnt(0)
	; wave barrier
	s_waitcnt lgkmcnt(0)
	ds_write_b128 v72, v[122:125]
	ds_write_b128 v73, v[130:133]
	;; [unrolled: 1-line block ×10, first 2 shown]
	s_and_saveexec_b64 s[4:5], s[0:1]
	s_cbranch_execz .LBB0_21
; %bb.20:
	ds_write_b128 v4, v[10:13]
.LBB0_21:
	s_or_b64 exec, exec, s[4:5]
	v_add_u32_e32 v4, 0x800, v128
	v_add_u32_e32 v14, 0x1000, v128
	;; [unrolled: 1-line block ×4, first 2 shown]
	s_waitcnt lgkmcnt(0)
	; wave barrier
	s_waitcnt lgkmcnt(0)
	ds_read2_b64 v[18:21], v4 offset0:206 offset1:250
	v_add_u32_e32 v70, v16, v5
	ds_read2_b64 v[4:7], v14 offset0:38 offset1:82
	v_add_u32_e32 v71, v17, v25
	ds_read_b64 v[58:59], v128
	ds_read_b64 v[62:63], v129
	;; [unrolled: 1-line block ×4, first 2 shown]
	ds_read2_b64 v[14:17], v14 offset0:126 offset1:170
	v_add_u32_e32 v75, v29, v75
	v_add_u32_e32 v72, v32, v80
	ds_read2_b64 v[22:25], v22 offset0:86 offset1:130
	v_add_u32_e32 v77, v33, v77
	ds_read_b64 v[42:43], v74
	ds_read_b64 v[46:47], v75
	;; [unrolled: 1-line block ×4, first 2 shown]
	v_add_u32_e32 v30, v68, v79
	v_add_u32_e32 v26, 0x1800, v128
	ds_read2_b64 v[26:29], v26 offset0:46 offset1:90
	v_add_u32_e32 v73, v69, v78
	ds_read_b64 v[66:67], v30
	ds_read_b64 v[68:69], v73
	v_lshlrev_b32_e32 v2, 1, v126
	v_lshlrev_b32_e32 v3, 1, v127
	;; [unrolled: 1-line block ×10, first 2 shown]
	s_and_saveexec_b64 s[4:5], s[0:1]
	s_cbranch_execz .LBB0_23
; %bb.22:
	ds_read_b64 v[10:11], v128 offset:3520
	ds_read_b64 v[12:13], v128 offset:7216
.LBB0_23:
	s_or_b64 exec, exec, s[4:5]
	v_and_b32_e32 v78, 1, v126
	v_lshlrev_b32_e32 v30, 4, v78
	global_load_dwordx4 v[30:33], v30, s[8:9]
	s_movk_i32 s4, 0x7c
	s_movk_i32 s5, 0xfc
	;; [unrolled: 1-line block ×4, first 2 shown]
	v_and_or_b32 v2, v2, s4, v78
	v_and_or_b32 v3, v3, s5, v78
	;; [unrolled: 1-line block ×6, first 2 shown]
	v_lshl_add_u32 v79, v2, 3, 0
	v_lshl_add_u32 v80, v3, 3, 0
	;; [unrolled: 1-line block ×6, first 2 shown]
	s_movk_i32 s7, 0x1fc
	v_and_or_b32 v81, v81, s7, v78
	v_and_or_b32 v82, v82, s7, v78
	;; [unrolled: 1-line block ×4, first 2 shown]
	s_waitcnt lgkmcnt(0)
	; wave barrier
	s_waitcnt lgkmcnt(0)
	v_lshl_add_u32 v81, v81, 3, 0
	v_lshl_add_u32 v82, v82, 3, 0
	;; [unrolled: 1-line block ×4, first 2 shown]
	s_waitcnt vmcnt(0)
	v_mul_f64 v[2:3], v[18:19], v[32:33]
	v_mul_f64 v[120:121], v[20:21], v[32:33]
	;; [unrolled: 1-line block ×10, first 2 shown]
	v_fma_f64 v[2:3], v[92:93], v[30:31], v[2:3]
	v_mul_f64 v[142:143], v[12:13], v[32:33]
	v_fma_f64 v[120:121], v[94:95], v[30:31], v[120:121]
	v_fma_f64 v[122:123], v[96:97], v[30:31], v[122:123]
	;; [unrolled: 1-line block ×9, first 2 shown]
	v_add_f64 v[144:145], v[0:1], -v[2:3]
	v_fma_f64 v[142:143], v[90:91], v[30:31], v[142:143]
	v_add_f64 v[120:121], v[8:9], -v[120:121]
	v_add_f64 v[122:123], v[36:37], -v[122:123]
	;; [unrolled: 1-line block ×9, first 2 shown]
	v_fma_f64 v[0:1], v[0:1], 2.0, -v[144:145]
	v_add_f64 v[2:3], v[88:89], -v[142:143]
	v_fma_f64 v[8:9], v[8:9], 2.0, -v[120:121]
	v_fma_f64 v[36:37], v[36:37], 2.0, -v[122:123]
	;; [unrolled: 1-line block ×9, first 2 shown]
	ds_write2_b64 v79, v[0:1], v[144:145] offset1:2
	ds_write2_b64 v80, v[8:9], v[120:121] offset1:2
	;; [unrolled: 1-line block ×10, first 2 shown]
	v_lshlrev_b32_e32 v49, 1, v76
	s_and_saveexec_b64 s[4:5], s[0:1]
	s_cbranch_execz .LBB0_25
; %bb.24:
	v_fma_f64 v[0:1], v[88:89], 2.0, -v[2:3]
	v_and_or_b32 v8, v49, s6, v78
	v_lshl_add_u32 v8, v8, 3, 0
	ds_write2_b64 v8, v[0:1], v[2:3] offset1:2
.LBB0_25:
	s_or_b64 exec, exec, s[4:5]
	v_mul_f64 v[0:1], v[92:93], v[32:33]
	v_mul_f64 v[8:9], v[94:95], v[32:33]
	;; [unrolled: 1-line block ×8, first 2 shown]
	v_fma_f64 v[0:1], v[18:19], v[30:31], -v[0:1]
	v_fma_f64 v[8:9], v[20:21], v[30:31], -v[8:9]
	v_mul_f64 v[18:19], v[108:109], v[32:33]
	v_mul_f64 v[20:21], v[110:111], v[32:33]
	;; [unrolled: 1-line block ×3, first 2 shown]
	v_fma_f64 v[4:5], v[4:5], v[30:31], -v[36:37]
	v_fma_f64 v[6:7], v[6:7], v[30:31], -v[40:41]
	;; [unrolled: 1-line block ×3, first 2 shown]
	v_add_f64 v[64:65], v[58:59], -v[0:1]
	v_add_f64 v[88:89], v[62:63], -v[8:9]
	v_fma_f64 v[0:1], v[16:17], v[30:31], -v[52:53]
	v_fma_f64 v[8:9], v[22:23], v[30:31], -v[56:57]
	;; [unrolled: 1-line block ×6, first 2 shown]
	v_fma_f64 v[56:57], v[58:59], 2.0, -v[64:65]
	v_fma_f64 v[58:59], v[62:63], 2.0, -v[88:89]
	v_add_f64 v[60:61], v[34:35], -v[4:5]
	v_add_f64 v[62:63], v[38:39], -v[6:7]
	;; [unrolled: 1-line block ×4, first 2 shown]
	v_add_u32_e32 v52, 0x1000, v128
	v_add_u32_e32 v53, 0x800, v128
	;; [unrolled: 1-line block ×3, first 2 shown]
	v_add_f64 v[94:95], v[50:51], -v[8:9]
	v_add_f64 v[96:97], v[54:55], -v[16:17]
	;; [unrolled: 1-line block ×4, first 2 shown]
	v_fma_f64 v[102:103], v[34:35], 2.0, -v[60:61]
	v_fma_f64 v[104:105], v[38:39], 2.0, -v[62:63]
	;; [unrolled: 1-line block ×4, first 2 shown]
	v_add_f64 v[6:7], v[10:11], -v[12:13]
	s_waitcnt lgkmcnt(0)
	; wave barrier
	s_waitcnt lgkmcnt(0)
	ds_read_b64 v[38:39], v128
	ds_read_b64 v[46:47], v77
	ds_read2_b64 v[28:31], v52 offset0:104 offset1:148
	ds_read2_b64 v[32:35], v53 offset0:96 offset1:140
	ds_read_b64 v[40:41], v70
	ds_read2_b64 v[24:27], v52 offset0:192 offset1:236
	ds_read2_b64 v[20:23], v53 offset0:184 offset1:228
	ds_read2_b64 v[16:19], v48 offset0:24 offset1:68
	ds_read2_b64 v[12:15], v52 offset0:16 offset1:60
	ds_read_b64 v[36:37], v71
	ds_read_b64 v[8:9], v74
	;; [unrolled: 1-line block ×5, first 2 shown]
	ds_read_b64 v[44:45], v128 offset:7040
	v_fma_f64 v[50:51], v[50:51], 2.0, -v[94:95]
	v_fma_f64 v[54:55], v[54:55], 2.0, -v[96:97]
	v_fma_f64 v[66:67], v[66:67], 2.0, -v[98:99]
	v_fma_f64 v[68:69], v[68:69], 2.0, -v[100:101]
	s_waitcnt lgkmcnt(0)
	; wave barrier
	s_waitcnt lgkmcnt(0)
	ds_write2_b64 v79, v[56:57], v[64:65] offset1:2
	ds_write2_b64 v80, v[58:59], v[88:89] offset1:2
	;; [unrolled: 1-line block ×10, first 2 shown]
	s_and_saveexec_b64 s[4:5], s[0:1]
	s_cbranch_execz .LBB0_27
; %bb.26:
	v_fma_f64 v[10:11], v[10:11], 2.0, -v[6:7]
	s_movk_i32 s0, 0x3fc
	v_and_or_b32 v49, v49, s0, v78
	v_lshl_add_u32 v49, v49, 3, 0
	ds_write2_b64 v49, v[10:11], v[6:7] offset1:2
.LBB0_27:
	s_or_b64 exec, exec, s[4:5]
	v_and_b32_e32 v51, 3, v126
	v_lshlrev_b32_e32 v10, 5, v51
	s_waitcnt lgkmcnt(0)
	; wave barrier
	s_waitcnt lgkmcnt(0)
	global_load_dwordx4 v[54:57], v10, s[8:9] offset:32
	global_load_dwordx4 v[58:61], v10, s[8:9] offset:48
	ds_read_b64 v[10:11], v128
	ds_read_b64 v[49:50], v77
	ds_read2_b64 v[62:65], v52 offset0:104 offset1:148
	ds_read2_b64 v[66:69], v53 offset0:96 offset1:140
	ds_read_b64 v[92:93], v70
	ds_read2_b64 v[76:79], v52 offset0:192 offset1:236
	ds_read2_b64 v[80:83], v53 offset0:184 offset1:228
	;; [unrolled: 1-line block ×4, first 2 shown]
	ds_read_b64 v[94:95], v71
	ds_read_b64 v[96:97], v74
	;; [unrolled: 1-line block ×5, first 2 shown]
	ds_read_b64 v[102:103], v128 offset:7040
	s_mov_b32 s0, 0xe8584caa
	s_mov_b32 s1, 0xbfebb67a
	;; [unrolled: 1-line block ×4, first 2 shown]
	s_waitcnt lgkmcnt(0)
	; wave barrier
	s_waitcnt lgkmcnt(0)
	s_mov_b32 s6, 0x37e14327
	s_mov_b32 s14, 0xe976ee23
	;; [unrolled: 1-line block ×18, first 2 shown]
	s_waitcnt vmcnt(1)
	v_mul_f64 v[104:105], v[49:50], v[56:57]
	s_waitcnt vmcnt(0)
	v_mul_f64 v[108:109], v[62:63], v[60:61]
	v_mul_f64 v[121:122], v[32:33], v[56:57]
	;; [unrolled: 1-line block ×27, first 2 shown]
	v_fma_f64 v[46:47], v[46:47], v[54:55], v[104:105]
	v_fma_f64 v[28:29], v[28:29], v[58:59], v[108:109]
	v_fma_f64 v[66:67], v[66:67], v[54:55], -v[121:122]
	v_fma_f64 v[64:65], v[64:65], v[58:59], -v[130:131]
	;; [unrolled: 1-line block ×4, first 2 shown]
	v_fma_f64 v[32:33], v[32:33], v[54:55], v[119:120]
	v_fma_f64 v[30:31], v[30:31], v[58:59], v[123:124]
	v_fma_f64 v[34:35], v[34:35], v[54:55], v[132:133]
	v_fma_f64 v[68:69], v[68:69], v[54:55], -v[134:135]
	v_fma_f64 v[24:25], v[24:25], v[58:59], v[136:137]
	v_fma_f64 v[76:77], v[76:77], v[58:59], -v[138:139]
	v_fma_f64 v[20:21], v[20:21], v[54:55], v[140:141]
	;; [unrolled: 2-line block ×9, first 2 shown]
	v_fma_f64 v[56:57], v[102:103], v[58:59], -v[60:61]
	v_add_f64 v[58:59], v[38:39], v[46:47]
	v_add_f64 v[60:61], v[46:47], v[28:29]
	v_add_f64 v[108:109], v[66:67], -v[64:65]
	v_add_f64 v[110:111], v[100:101], v[66:67]
	v_add_f64 v[66:67], v[66:67], v[64:65]
	v_add_f64 v[90:91], v[49:50], -v[62:63]
	v_add_f64 v[46:47], v[46:47], -v[28:29]
	v_add_f64 v[104:105], v[42:43], v[32:33]
	v_add_f64 v[106:107], v[32:33], v[30:31]
	v_add_f64 v[32:33], v[32:33], -v[30:31]
	v_add_f64 v[28:29], v[58:59], v[28:29]
	v_fma_f64 v[38:39], v[60:61], -0.5, v[38:39]
	v_fma_f64 v[58:59], v[66:67], -0.5, v[100:101]
	v_add_f64 v[119:120], v[40:41], v[34:35]
	v_add_f64 v[123:124], v[68:69], -v[76:77]
	v_add_f64 v[130:131], v[92:93], v[68:69]
	v_add_f64 v[68:69], v[68:69], v[76:77]
	;; [unrolled: 1-line block ×4, first 2 shown]
	v_fma_f64 v[60:61], v[90:91], s[0:1], v[38:39]
	v_fma_f64 v[38:39], v[90:91], s[4:5], v[38:39]
	;; [unrolled: 1-line block ×4, first 2 shown]
	v_add_f64 v[58:59], v[20:21], v[26:27]
	v_add_f64 v[32:33], v[119:120], v[24:25]
	v_fma_f64 v[68:69], v[68:69], -0.5, v[92:93]
	v_add_f64 v[24:25], v[34:35], -v[24:25]
	v_add_f64 v[92:93], v[36:37], v[20:21]
	v_add_f64 v[100:101], v[80:81], v[78:79]
	;; [unrolled: 1-line block ×4, first 2 shown]
	v_fma_f64 v[36:37], v[58:59], -0.5, v[36:37]
	v_add_f64 v[58:59], v[80:81], -v[78:79]
	v_add_f64 v[30:31], v[104:105], v[30:31]
	v_fma_f64 v[102:103], v[24:25], s[4:5], v[68:69]
	v_add_f64 v[80:81], v[94:95], v[80:81]
	v_fma_f64 v[24:25], v[24:25], s[0:1], v[68:69]
	v_add_f64 v[68:69], v[92:93], v[26:27]
	v_add_f64 v[92:93], v[22:23], v[16:17]
	v_fma_f64 v[94:95], v[100:101], -0.5, v[94:95]
	v_add_f64 v[20:21], v[20:21], -v[26:27]
	v_fma_f64 v[26:27], v[58:59], s[0:1], v[36:37]
	v_fma_f64 v[36:37], v[58:59], s[4:5], v[36:37]
	v_add_f64 v[58:59], v[82:83], v[84:85]
	v_add_f64 v[104:105], v[12:13], v[18:19]
	;; [unrolled: 1-line block ×4, first 2 shown]
	v_fma_f64 v[8:9], v[92:93], -0.5, v[8:9]
	v_add_f64 v[92:93], v[82:83], -v[84:85]
	v_fma_f64 v[100:101], v[20:21], s[4:5], v[94:95]
	v_fma_f64 v[94:95], v[20:21], s[0:1], v[94:95]
	v_add_f64 v[20:21], v[96:97], v[82:83]
	v_fma_f64 v[58:59], v[58:59], -0.5, v[96:97]
	v_add_f64 v[22:23], v[22:23], -v[16:17]
	v_add_f64 v[82:83], v[4:5], v[12:13]
	v_fma_f64 v[4:5], v[104:105], -0.5, v[4:5]
	v_add_f64 v[96:97], v[88:89], -v[86:87]
	v_add_f64 v[16:17], v[80:81], v[16:17]
	v_fma_f64 v[80:81], v[92:93], s[0:1], v[8:9]
	v_fma_f64 v[8:9], v[92:93], s[4:5], v[8:9]
	v_fma_f64 v[10:11], v[49:50], -0.5, v[10:11]
	v_fma_f64 v[92:93], v[22:23], s[4:5], v[58:59]
	v_fma_f64 v[22:23], v[22:23], s[0:1], v[58:59]
	v_add_f64 v[58:59], v[82:83], v[18:19]
	v_add_f64 v[82:83], v[14:15], v[44:45]
	v_fma_f64 v[104:105], v[96:97], s[0:1], v[4:5]
	v_fma_f64 v[4:5], v[96:97], s[4:5], v[4:5]
	v_add_f64 v[96:97], v[54:55], v[56:57]
	v_fma_f64 v[42:43], v[106:107], -0.5, v[42:43]
	v_add_f64 v[84:85], v[20:21], v[84:85]
	v_add_f64 v[20:21], v[88:89], v[86:87]
	v_add_f64 v[12:13], v[12:13], -v[18:19]
	v_add_f64 v[18:19], v[0:1], v[14:15]
	v_fma_f64 v[0:1], v[82:83], -0.5, v[0:1]
	v_add_f64 v[14:15], v[14:15], -v[44:45]
	v_fma_f64 v[82:83], v[96:97], -0.5, v[98:99]
	v_add_f64 v[49:50], v[110:111], v[64:65]
	v_fma_f64 v[64:65], v[46:47], s[4:5], v[10:11]
	v_fma_f64 v[46:47], v[46:47], s[0:1], v[10:11]
	;; [unrolled: 1-line block ×4, first 2 shown]
	v_add_f64 v[88:89], v[74:75], v[88:89]
	v_fma_f64 v[20:21], v[20:21], -0.5, v[74:75]
	v_add_f64 v[74:75], v[54:55], -v[56:57]
	v_add_f64 v[54:55], v[98:99], v[54:55]
	v_fma_f64 v[98:99], v[14:15], s[4:5], v[82:83]
	v_fma_f64 v[82:83], v[14:15], s[0:1], v[82:83]
	v_lshrrev_b32_e32 v15, 2, v127
	v_fma_f64 v[40:41], v[121:122], -0.5, v[40:41]
	v_mul_lo_u32 v15, v15, 12
	v_lshrrev_b32_e32 v14, 2, v126
	v_mul_u32_u24_e32 v14, 12, v14
	v_or_b32_e32 v14, v14, v51
	v_lshl_add_u32 v108, v14, 3, 0
	v_or_b32_e32 v14, v15, v51
	ds_write2_b64 v108, v[28:29], v[60:61] offset1:4
	ds_write_b64 v108, v[38:39] offset:64
	v_lshrrev_b32_e32 v15, 2, v114
	v_lshl_add_u32 v28, v14, 3, 0
	v_mul_lo_u32 v15, v15, 12
	ds_write2_b64 v28, v[30:31], v[10:11] offset1:4
	ds_write_b64 v28, v[42:43] offset:64
	v_lshrrev_b32_e32 v11, 2, v115
	v_mul_lo_u32 v11, v11, 12
	v_fma_f64 v[34:35], v[123:124], s[0:1], v[40:41]
	v_fma_f64 v[40:41], v[123:124], s[4:5], v[40:41]
	v_or_b32_e32 v10, v15, v51
	v_lshl_add_u32 v29, v10, 3, 0
	v_or_b32_e32 v10, v11, v51
	v_lshrrev_b32_e32 v11, 2, v116
	v_mul_lo_u32 v11, v11, 12
	ds_write2_b64 v29, v[32:33], v[34:35] offset1:4
	ds_write_b64 v29, v[40:41] offset:64
	v_lshl_add_u32 v40, v10, 3, 0
	v_or_b32_e32 v10, v11, v51
	v_lshrrev_b32_e32 v11, 2, v117
	v_add_f64 v[86:87], v[88:89], v[86:87]
	v_fma_f64 v[88:89], v[12:13], s[4:5], v[20:21]
	v_fma_f64 v[96:97], v[12:13], s[0:1], v[20:21]
	v_add_f64 v[12:13], v[18:19], v[44:45]
	v_fma_f64 v[18:19], v[74:75], s[0:1], v[0:1]
	ds_write2_b64 v40, v[68:69], v[26:27] offset1:4
	ds_write_b64 v40, v[36:37] offset:64
	v_mul_lo_u32 v11, v11, 12
	v_lshl_add_u32 v26, v10, 3, 0
	v_fma_f64 v[0:1], v[74:75], s[4:5], v[0:1]
	ds_write2_b64 v26, v[16:17], v[80:81] offset1:4
	ds_write_b64 v26, v[8:9] offset:64
	v_lshrrev_b32_e32 v9, 2, v118
	v_mul_lo_u32 v9, v9, 12
	v_add_f64 v[76:77], v[130:131], v[76:77]
	v_or_b32_e32 v8, v11, v51
	v_lshl_add_u32 v27, v8, 3, 0
	ds_write2_b64 v27, v[58:59], v[104:105] offset1:4
	ds_write_b64 v27, v[4:5] offset:64
	v_or_b32_e32 v4, v9, v51
	v_lshl_add_u32 v4, v4, 3, 0
	v_add_u32_e32 v130, 0xc00, v128
	v_add_u32_e32 v5, 0x1400, v128
	;; [unrolled: 1-line block ×3, first 2 shown]
	s_movk_i32 s0, 0xab
	v_add_f64 v[74:75], v[54:55], v[56:57]
	ds_write2_b64 v4, v[12:13], v[18:19] offset1:4
	ds_write_b64 v4, v[0:1] offset:64
	s_waitcnt lgkmcnt(0)
	; wave barrier
	s_waitcnt lgkmcnt(0)
	ds_read2_b64 v[10:13], v128 offset1:176
	ds_read_b64 v[34:35], v72
	ds_read_b64 v[104:105], v73
	ds_read2_b64 v[14:17], v130 offset0:100 offset1:144
	ds_read2_b64 v[18:21], v52 offset0:148 offset1:192
	;; [unrolled: 1-line block ×3, first 2 shown]
	ds_read_b64 v[8:9], v129
	ds_read2_b64 v[30:33], v51 offset0:92 offset1:180
	ds_read2_b64 v[36:39], v53 offset0:96 offset1:184
	;; [unrolled: 1-line block ×4, first 2 shown]
	ds_read_b64 v[106:107], v71
	ds_read_b64 v[0:1], v70
	s_waitcnt lgkmcnt(0)
	; wave barrier
	s_waitcnt lgkmcnt(0)
	ds_write2_b64 v108, v[62:63], v[64:65] offset1:4
	ds_write_b64 v108, v[46:47] offset:64
	ds_write2_b64 v28, v[49:50], v[66:67] offset1:4
	ds_write_b64 v28, v[90:91] offset:64
	;; [unrolled: 2-line block ×7, first 2 shown]
	v_mul_lo_u16_sdwa v4, v126, s0 dst_sel:DWORD dst_unused:UNUSED_PAD src0_sel:BYTE_0 src1_sel:DWORD
	v_lshrrev_b16_e32 v40, 11, v4
	v_mul_lo_u16_e32 v4, 12, v40
	v_sub_u16_e32 v41, v126, v4
	v_mov_b32_e32 v4, 6
	v_mul_u32_u24_sdwa v22, v41, v4 dst_sel:DWORD dst_unused:UNUSED_PAD src0_sel:BYTE_0 src1_sel:DWORD
	v_lshlrev_b32_e32 v22, 4, v22
	s_waitcnt lgkmcnt(0)
	; wave barrier
	s_waitcnt lgkmcnt(0)
	global_load_dwordx4 v[62:65], v22, s[8:9] offset:160
	global_load_dwordx4 v[66:69], v22, s[8:9] offset:176
	;; [unrolled: 1-line block ×6, first 2 shown]
	v_mul_lo_u16_sdwa v22, v127, s0 dst_sel:DWORD dst_unused:UNUSED_PAD src0_sel:BYTE_0 src1_sel:DWORD
	v_lshrrev_b16_e32 v199, 11, v22
	v_mul_lo_u16_e32 v22, 12, v199
	v_sub_u16_e32 v200, v127, v22
	v_mul_u32_u24_sdwa v22, v200, v4 dst_sel:DWORD dst_unused:UNUSED_PAD src0_sel:BYTE_0 src1_sel:DWORD
	v_lshlrev_b32_e32 v22, 4, v22
	global_load_dwordx4 v[120:123], v22, s[8:9] offset:160
	global_load_dwordx4 v[131:134], v22, s[8:9] offset:176
	global_load_dwordx4 v[135:138], v22, s[8:9] offset:192
	global_load_dwordx4 v[139:142], v22, s[8:9] offset:208
	global_load_dwordx4 v[143:146], v22, s[8:9] offset:224
	global_load_dwordx4 v[147:150], v22, s[8:9] offset:240
	v_mul_lo_u16_sdwa v22, v114, s0 dst_sel:DWORD dst_unused:UNUSED_PAD src0_sel:BYTE_0 src1_sel:DWORD
	v_lshrrev_b16_e32 v201, 11, v22
	v_mul_lo_u16_e32 v22, 12, v201
	v_sub_u16_e32 v202, v114, v22
	v_mul_u32_u24_sdwa v4, v202, v4 dst_sel:DWORD dst_unused:UNUSED_PAD src0_sel:BYTE_0 src1_sel:DWORD
	v_lshlrev_b32_e32 v4, 4, v4
	global_load_dwordx4 v[151:154], v4, s[8:9] offset:160
	global_load_dwordx4 v[155:158], v4, s[8:9] offset:176
	;; [unrolled: 1-line block ×6, first 2 shown]
	ds_read2_b64 v[24:27], v128 offset1:176
	ds_read_b64 v[22:23], v72
	ds_read_b64 v[46:47], v73
	ds_read2_b64 v[175:178], v130 offset0:100 offset1:144
	ds_read2_b64 v[179:182], v52 offset0:148 offset1:192
	ds_read_b64 v[71:72], v71
	ds_read2_b64 v[183:186], v5 offset0:108 offset1:152
	ds_read_b64 v[28:29], v129
	;; [unrolled: 2-line block ×3, first 2 shown]
	ds_read2_b64 v[191:194], v53 offset0:96 offset1:184
	ds_read2_b64 v[195:198], v52 offset0:60 offset1:104
	;; [unrolled: 1-line block ×3, first 2 shown]
	s_mov_b32 s4, 0x36b3c0b5
	s_mov_b32 s5, 0x3fac98ee
	v_mul_u32_u24_e32 v40, 0x2a0, v40
	s_waitcnt lgkmcnt(0)
	; wave barrier
	s_waitcnt lgkmcnt(0)
	v_cmp_gt_u32_e64 s[0:1], 40, v126
	s_waitcnt vmcnt(17)
	v_mul_f64 v[90:91], v[71:72], v[64:65]
	v_mul_f64 v[64:65], v[106:107], v[64:65]
	s_waitcnt vmcnt(16)
	v_mul_f64 v[94:95], v[22:23], v[68:69]
	v_mul_f64 v[68:69], v[34:35], v[68:69]
	s_waitcnt vmcnt(15)
	v_mul_f64 v[98:99], v[46:47], v[76:77]
	v_fma_f64 v[92:93], v[106:107], v[62:63], v[90:91]
	v_fma_f64 v[96:97], v[71:72], v[62:63], -v[64:65]
	v_fma_f64 v[94:95], v[34:35], v[66:67], v[94:95]
	v_mul_f64 v[34:35], v[104:105], v[76:77]
	s_waitcnt vmcnt(14)
	v_mul_f64 v[62:63], v[177:178], v[80:81]
	v_fma_f64 v[100:101], v[22:23], v[66:67], -v[68:69]
	v_fma_f64 v[98:99], v[104:105], v[74:75], v[98:99]
	v_mul_f64 v[22:23], v[16:17], v[80:81]
	s_waitcnt vmcnt(12)
	v_mul_f64 v[64:65], v[179:180], v[88:89]
	v_mul_f64 v[66:67], v[18:19], v[88:89]
	v_mul_f64 v[68:69], v[185:186], v[84:85]
	v_fma_f64 v[104:105], v[46:47], v[74:75], -v[34:35]
	v_fma_f64 v[106:107], v[16:17], v[78:79], v[62:63]
	v_mul_f64 v[16:17], v[44:45], v[84:85]
	s_waitcnt vmcnt(11)
	v_mul_f64 v[34:35], v[26:27], v[122:123]
	v_fma_f64 v[108:109], v[177:178], v[78:79], -v[22:23]
	v_fma_f64 v[114:115], v[18:19], v[86:87], v[64:65]
	v_mul_f64 v[18:19], v[12:13], v[122:123]
	s_waitcnt vmcnt(10)
	v_mul_f64 v[22:23], v[189:190], v[133:134]
	v_fma_f64 v[116:117], v[179:180], v[86:87], -v[66:67]
	v_fma_f64 v[110:111], v[44:45], v[82:83], v[68:69]
	v_fma_f64 v[118:119], v[185:186], v[82:83], -v[16:17]
	v_fma_f64 v[46:47], v[12:13], v[120:121], v[34:35]
	v_mul_f64 v[12:13], v[32:33], v[133:134]
	s_waitcnt vmcnt(9)
	v_mul_f64 v[16:17], v[193:194], v[137:138]
	v_fma_f64 v[88:89], v[26:27], v[120:121], -v[18:19]
	v_fma_f64 v[66:67], v[32:33], v[131:132], v[22:23]
	s_waitcnt vmcnt(8)
	v_mul_f64 v[18:19], v[54:55], v[141:142]
	s_waitcnt vmcnt(7)
	v_mul_f64 v[22:23], v[181:182], v[145:146]
	;; [unrolled: 2-line block ×3, first 2 shown]
	v_mul_f64 v[34:35], v[38:39], v[137:138]
	v_fma_f64 v[86:87], v[189:190], v[131:132], -v[12:13]
	v_fma_f64 v[70:71], v[38:39], v[135:136], v[16:17]
	v_mul_f64 v[12:13], v[20:21], v[145:146]
	v_mul_f64 v[16:17], v[48:49], v[149:150]
	v_fma_f64 v[82:83], v[195:196], v[139:140], -v[18:19]
	v_fma_f64 v[74:75], v[20:21], v[143:144], v[22:23]
	v_mul_f64 v[18:19], v[58:59], v[149:150]
	v_mul_f64 v[20:21], v[187:188], v[153:154]
	;; [unrolled: 1-line block ×4, first 2 shown]
	v_fma_f64 v[90:91], v[181:182], v[143:144], -v[12:13]
	v_fma_f64 v[78:79], v[58:59], v[147:148], v[16:17]
	v_mul_f64 v[12:13], v[36:37], v[157:158]
	s_waitcnt vmcnt(3)
	v_mul_f64 v[16:17], v[175:176], v[161:162]
	v_fma_f64 v[102:103], v[48:49], v[147:148], -v[18:19]
	v_fma_f64 v[26:27], v[30:31], v[151:152], v[20:21]
	v_fma_f64 v[30:31], v[36:37], v[155:156], v[32:33]
	v_mul_f64 v[18:19], v[14:15], v[161:162]
	s_waitcnt vmcnt(2)
	v_mul_f64 v[20:21], v[197:198], v[165:166]
	v_fma_f64 v[76:77], v[193:194], v[135:136], -v[34:35]
	v_fma_f64 v[36:37], v[191:192], v[155:156], -v[12:13]
	v_fma_f64 v[32:33], v[14:15], v[159:160], v[16:17]
	v_add_f64 v[12:13], v[92:93], v[110:111]
	v_add_f64 v[14:15], v[94:95], v[114:115]
	v_fma_f64 v[72:73], v[54:55], v[139:140], v[44:45]
	v_fma_f64 v[34:35], v[187:188], v[151:152], -v[22:23]
	v_mul_f64 v[16:17], v[56:57], v[165:166]
	s_waitcnt vmcnt(1)
	v_mul_f64 v[22:23], v[183:184], v[169:170]
	v_fma_f64 v[44:45], v[175:176], v[159:160], -v[18:19]
	v_fma_f64 v[38:39], v[56:57], v[163:164], v[20:21]
	v_add_f64 v[18:19], v[100:101], -v[116:117]
	v_add_f64 v[20:21], v[98:99], v[106:107]
	v_add_f64 v[48:49], v[108:109], -v[104:105]
	v_add_f64 v[54:55], v[14:15], v[12:13]
	v_fma_f64 v[68:69], v[197:198], v[163:164], -v[16:17]
	v_fma_f64 v[64:65], v[42:43], v[167:168], v[22:23]
	v_mul_f64 v[16:17], v[42:43], v[169:170]
	v_add_f64 v[42:43], v[96:97], -v[118:119]
	v_add_f64 v[62:63], v[14:15], -v[12:13]
	;; [unrolled: 1-line block ×3, first 2 shown]
	v_add_f64 v[58:59], v[48:49], v[18:19]
	v_add_f64 v[54:55], v[20:21], v[54:55]
	v_add_f64 v[14:15], v[20:21], -v[14:15]
	v_add_f64 v[20:21], v[48:49], -v[18:19]
	s_waitcnt vmcnt(0)
	v_mul_f64 v[22:23], v[50:51], v[173:174]
	v_add_f64 v[48:49], v[42:43], -v[48:49]
	v_add_f64 v[18:19], v[18:19], -v[42:43]
	v_mul_f64 v[56:57], v[60:61], v[173:174]
	v_add_f64 v[42:43], v[58:59], v[42:43]
	v_add_f64 v[58:59], v[10:11], v[54:55]
	v_mul_f64 v[10:11], v[12:13], s[6:7]
	v_mul_f64 v[12:13], v[14:15], s[4:5]
	;; [unrolled: 1-line block ×3, first 2 shown]
	v_fma_f64 v[122:123], v[183:184], v[167:168], -v[16:17]
	v_mul_f64 v[80:81], v[18:19], s[10:11]
	v_fma_f64 v[120:121], v[60:61], v[171:172], v[22:23]
	v_fma_f64 v[124:125], v[50:51], v[171:172], -v[56:57]
	v_fma_f64 v[54:55], v[54:55], s[16:17], v[58:59]
	v_fma_f64 v[14:15], v[14:15], s[4:5], v[10:11]
	v_fma_f64 v[12:13], v[62:63], s[18:19], -v[12:13]
	v_fma_f64 v[10:11], v[62:63], s[20:21], -v[10:11]
	v_fma_f64 v[62:63], v[48:49], s[22:23], v[20:21]
	v_fma_f64 v[18:19], v[18:19], s[10:11], -v[20:21]
	v_fma_f64 v[48:49], v[48:49], s[26:27], -v[80:81]
	v_add_f64 v[16:17], v[70:71], v[72:73]
	v_add_f64 v[60:61], v[86:87], -v[90:91]
	v_add_f64 v[14:15], v[14:15], v[54:55]
	v_add_f64 v[12:13], v[12:13], v[54:55]
	;; [unrolled: 1-line block ×3, first 2 shown]
	v_fma_f64 v[20:21], v[42:43], s[24:25], v[62:63]
	v_add_f64 v[54:55], v[46:47], v[78:79]
	v_add_f64 v[62:63], v[66:67], v[74:75]
	v_fma_f64 v[18:19], v[42:43], s[24:25], v[18:19]
	v_fma_f64 v[48:49], v[42:43], s[24:25], v[48:49]
	v_add_f64 v[80:81], v[82:83], -v[76:77]
	v_add_f64 v[134:135], v[30:31], v[64:65]
	v_add_f64 v[138:139], v[68:69], -v[44:45]
	v_add_f64 v[42:43], v[20:21], v[14:15]
	;; [unrolled: 2-line block ×5, first 2 shown]
	v_add_f64 v[48:49], v[10:11], -v[48:49]
	v_add_f64 v[14:15], v[54:55], -v[16:17]
	v_add_f64 v[18:19], v[80:81], v[60:61]
	v_add_f64 v[10:11], v[16:17], v[22:23]
	v_add_f64 v[16:17], v[16:17], -v[62:63]
	v_add_f64 v[20:21], v[80:81], -v[60:61]
	;; [unrolled: 1-line block ×5, first 2 shown]
	v_add_f64 v[80:81], v[26:27], v[120:121]
	v_add_f64 v[12:13], v[18:19], v[12:13]
	;; [unrolled: 1-line block ×3, first 2 shown]
	v_mul_f64 v[8:9], v[14:15], s[6:7]
	v_mul_f64 v[14:15], v[16:17], s[4:5]
	v_mul_f64 v[18:19], v[20:21], s[14:15]
	v_mul_f64 v[20:21], v[22:23], s[10:11]
	v_add_f64 v[140:141], v[34:35], -v[124:125]
	v_add_f64 v[136:137], v[134:135], v[80:81]
	v_fma_f64 v[10:11], v[10:11], s[16:17], v[62:63]
	v_fma_f64 v[16:17], v[16:17], s[4:5], v[8:9]
	v_fma_f64 v[14:15], v[54:55], s[18:19], -v[14:15]
	v_fma_f64 v[8:9], v[54:55], s[20:21], -v[8:9]
	v_fma_f64 v[54:55], v[60:61], s[22:23], v[18:19]
	v_fma_f64 v[18:19], v[22:23], s[10:11], -v[18:19]
	v_add_f64 v[22:23], v[32:33], v[38:39]
	v_fma_f64 v[20:21], v[60:61], s[26:27], -v[20:21]
	v_add_f64 v[60:61], v[36:37], -v[122:123]
	v_add_f64 v[16:17], v[16:17], v[10:11]
	v_add_f64 v[14:15], v[14:15], v[10:11]
	;; [unrolled: 1-line block ×3, first 2 shown]
	v_fma_f64 v[54:55], v[12:13], s[24:25], v[54:55]
	v_fma_f64 v[18:19], v[12:13], s[24:25], v[18:19]
	v_add_f64 v[136:137], v[22:23], v[136:137]
	v_add_f64 v[142:143], v[80:81], -v[22:23]
	v_add_f64 v[22:23], v[22:23], -v[134:135]
	;; [unrolled: 1-line block ×5, first 2 shown]
	v_add_f64 v[60:61], v[138:139], v[60:61]
	v_add_f64 v[138:139], v[140:141], -v[138:139]
	v_add_f64 v[8:9], v[0:1], v[136:137]
	v_mul_f64 v[0:1], v[142:143], s[6:7]
	v_mul_f64 v[134:135], v[22:23], s[4:5]
	v_mul_f64 v[142:143], v[144:145], s[14:15]
	v_mul_f64 v[144:145], v[146:147], s[10:11]
	v_fma_f64 v[12:13], v[12:13], s[24:25], v[20:21]
	v_add_f64 v[60:61], v[60:61], v[140:141]
	v_fma_f64 v[136:137], v[136:137], s[16:17], v[8:9]
	v_fma_f64 v[22:23], v[22:23], s[4:5], v[0:1]
	v_fma_f64 v[134:135], v[80:81], s[18:19], -v[134:135]
	v_fma_f64 v[0:1], v[80:81], s[20:21], -v[0:1]
	v_fma_f64 v[80:81], v[138:139], s[22:23], v[142:143]
	v_fma_f64 v[138:139], v[138:139], s[26:27], -v[144:145]
	v_fma_f64 v[140:141], v[146:147], s[10:11], -v[142:143]
	v_add_f64 v[142:143], v[54:55], v[16:17]
	v_add_f64 v[144:145], v[22:23], v[136:137]
	;; [unrolled: 1-line block ×4, first 2 shown]
	v_fma_f64 v[134:135], v[60:61], s[24:25], v[80:81]
	v_fma_f64 v[22:23], v[60:61], s[24:25], v[138:139]
	;; [unrolled: 1-line block ×3, first 2 shown]
	v_add_f64 v[136:137], v[12:13], v[10:11]
	v_add_f64 v[12:13], v[10:11], -v[12:13]
	v_add_f64 v[138:139], v[14:15], -v[18:19]
	v_add_f64 v[80:81], v[18:19], v[14:15]
	v_add_f64 v[14:15], v[16:17], -v[54:55]
	v_add_f64 v[10:11], v[134:135], v[144:145]
	v_add_f64 v[16:17], v[22:23], v[0:1]
	v_add_f64 v[18:19], v[20:21], -v[60:61]
	v_add_f64 v[20:21], v[60:61], v[20:21]
	v_add_f64 v[22:23], v[0:1], -v[22:23]
	v_add_f64 v[0:1], v[144:145], -v[134:135]
	v_mov_b32_e32 v54, 3
	v_lshlrev_b32_sdwa v41, v54, v41 dst_sel:DWORD dst_unused:UNUSED_PAD src0_sel:DWORD src1_sel:BYTE_0
	v_add3_u32 v131, 0, v40, v41
	v_mul_u32_u24_e32 v40, 0x2a0, v199
	v_lshlrev_b32_sdwa v41, v54, v200 dst_sel:DWORD dst_unused:UNUSED_PAD src0_sel:DWORD src1_sel:BYTE_0
	ds_write2_b64 v131, v[58:59], v[42:43] offset1:12
	ds_write2_b64 v131, v[50:51], v[56:57] offset0:24 offset1:36
	ds_write2_b64 v131, v[84:85], v[48:49] offset0:48 offset1:60
	ds_write_b64 v131, v[132:133] offset:576
	v_add3_u32 v132, 0, v40, v41
	v_mul_u32_u24_e32 v40, 0x2a0, v201
	v_lshlrev_b32_sdwa v41, v54, v202 dst_sel:DWORD dst_unused:UNUSED_PAD src0_sel:DWORD src1_sel:BYTE_0
	v_add3_u32 v133, 0, v40, v41
	ds_write2_b64 v132, v[62:63], v[142:143] offset1:12
	ds_write2_b64 v132, v[136:137], v[138:139] offset0:24 offset1:36
	ds_write2_b64 v132, v[80:81], v[12:13] offset0:48 offset1:60
	ds_write_b64 v132, v[14:15] offset:576
	ds_write2_b64 v133, v[8:9], v[10:11] offset1:12
	ds_write2_b64 v133, v[16:17], v[18:19] offset0:24 offset1:36
	ds_write2_b64 v133, v[20:21], v[22:23] offset0:48 offset1:60
	ds_write_b64 v133, v[0:1] offset:576
	s_waitcnt lgkmcnt(0)
	; wave barrier
	s_waitcnt lgkmcnt(0)
	ds_read2_b64 v[40:43], v128 offset1:84
	ds_read2_b64 v[48:51], v128 offset0:168 offset1:252
	ds_read2_b64 v[56:59], v53 offset0:80 offset1:164
	;; [unrolled: 1-line block ×4, first 2 shown]
	ds_read_b64 v[84:85], v128 offset:6720
	s_and_saveexec_b64 s[28:29], s[0:1]
	s_cbranch_execz .LBB0_29
; %bb.28:
	v_add_u32_e32 v0, 0x800, v128
	ds_read_b64 v[80:81], v129
	ds_read2_b64 v[12:15], v128 offset0:128 offset1:212
	ds_read2_b64 v[8:11], v0 offset0:40 offset1:124
	ds_read2_b64 v[16:19], v130 offset0:80 offset1:164
	v_add_u32_e32 v0, 0x1000, v128
	ds_read2_b64 v[20:23], v0 offset0:120 offset1:204
	v_add_u32_e32 v0, 0x1800, v128
	ds_read2_b64 v[0:3], v0 offset0:32 offset1:116
.LBB0_29:
	s_or_b64 exec, exec, s[28:29]
	v_add_f64 v[96:97], v[96:97], v[118:119]
	v_add_f64 v[100:101], v[100:101], v[116:117]
	v_add_f64 v[94:95], v[94:95], -v[114:115]
	v_add_f64 v[104:105], v[104:105], v[108:109]
	v_add_f64 v[98:99], v[106:107], -v[98:99]
	v_add_f64 v[92:93], v[92:93], -v[110:111]
	v_add_f64 v[88:89], v[88:89], v[102:103]
	v_add_f64 v[86:87], v[86:87], v[90:91]
	;; [unrolled: 1-line block ×4, first 2 shown]
	v_add_f64 v[66:67], v[66:67], -v[74:75]
	v_add_f64 v[108:109], v[96:97], -v[104:105]
	;; [unrolled: 1-line block ×4, first 2 shown]
	v_add_f64 v[94:95], v[98:99], v[94:95]
	v_add_f64 v[98:99], v[92:93], -v[98:99]
	v_add_f64 v[82:83], v[86:87], v[88:89]
	v_add_f64 v[106:107], v[104:105], v[106:107]
	v_add_f64 v[104:105], v[104:105], -v[100:101]
	v_mul_f64 v[108:109], v[108:109], s[6:7]
	v_mul_f64 v[110:111], v[110:111], s[14:15]
	;; [unrolled: 1-line block ×3, first 2 shown]
	v_add_f64 v[92:93], v[94:95], v[92:93]
	v_add_f64 v[70:71], v[72:73], -v[70:71]
	v_add_f64 v[72:73], v[88:89], -v[76:77]
	v_add_f64 v[114:115], v[24:25], v[106:107]
	v_add_f64 v[24:25], v[100:101], -v[96:97]
	v_mul_f64 v[96:97], v[104:105], s[4:5]
	v_fma_f64 v[94:95], v[104:105], s[4:5], v[108:109]
	v_fma_f64 v[100:101], v[98:99], s[22:23], v[110:111]
	v_fma_f64 v[102:103], v[102:103], s[10:11], -v[110:111]
	v_fma_f64 v[90:91], v[98:99], s[26:27], -v[90:91]
	v_add_f64 v[74:75], v[76:77], v[82:83]
	v_fma_f64 v[98:99], v[106:107], s[16:17], v[114:115]
	v_fma_f64 v[104:105], v[24:25], s[20:21], -v[108:109]
	v_fma_f64 v[24:25], v[24:25], s[18:19], -v[96:97]
	v_add_f64 v[46:47], v[46:47], -v[78:79]
	v_fma_f64 v[96:97], v[92:93], s[24:25], v[100:101]
	v_fma_f64 v[100:101], v[92:93], s[24:25], v[102:103]
	v_add_f64 v[82:83], v[70:71], -v[66:67]
	v_add_f64 v[34:35], v[34:35], v[124:125]
	v_add_f64 v[36:37], v[36:37], v[122:123]
	;; [unrolled: 1-line block ×4, first 2 shown]
	v_add_f64 v[26:27], v[26:27], -v[120:121]
	v_fma_f64 v[90:91], v[92:93], s[24:25], v[90:91]
	v_add_f64 v[92:93], v[94:95], v[98:99]
	v_add_f64 v[94:95], v[104:105], v[98:99]
	s_waitcnt lgkmcnt(0)
	v_add_f64 v[68:69], v[36:37], v[34:35]
	; wave barrier
	v_add_f64 v[102:103], v[100:101], v[24:25]
	v_add_f64 v[100:101], v[24:25], -v[100:101]
	v_add_f64 v[24:25], v[76:77], -v[86:87]
	v_add_f64 v[76:77], v[70:71], v[66:67]
	v_add_f64 v[86:87], v[86:87], -v[88:89]
	v_add_f64 v[88:89], v[28:29], v[74:75]
	v_mul_f64 v[28:29], v[72:73], s[6:7]
	v_add_f64 v[66:67], v[66:67], -v[46:47]
	v_add_f64 v[70:71], v[46:47], -v[70:71]
	v_add_f64 v[78:79], v[92:93], -v[96:97]
	v_mul_f64 v[72:73], v[24:25], s[4:5]
	v_add_f64 v[46:47], v[76:77], v[46:47]
	v_mul_f64 v[76:77], v[82:83], s[14:15]
	v_fma_f64 v[74:75], v[74:75], s[16:17], v[88:89]
	v_fma_f64 v[24:25], v[24:25], s[4:5], v[28:29]
	v_mul_f64 v[82:83], v[66:67], s[10:11]
	v_fma_f64 v[28:29], v[86:87], s[20:21], -v[28:29]
	v_add_f64 v[98:99], v[94:95], -v[90:91]
	v_fma_f64 v[72:73], v[86:87], s[18:19], -v[72:73]
	v_add_f64 v[90:91], v[90:91], v[94:95]
	v_fma_f64 v[86:87], v[70:71], s[22:23], v[76:77]
	v_fma_f64 v[66:67], v[66:67], s[10:11], -v[76:77]
	v_add_f64 v[76:77], v[24:25], v[74:75]
	v_add_f64 v[24:25], v[30:31], -v[64:65]
	v_add_f64 v[30:31], v[38:39], -v[32:33]
	v_add_f64 v[28:29], v[28:29], v[74:75]
	v_add_f64 v[32:33], v[72:73], v[74:75]
	;; [unrolled: 1-line block ×3, first 2 shown]
	v_add_f64 v[64:65], v[34:35], -v[44:45]
	v_add_f64 v[44:45], v[44:45], -v[36:37]
	v_fma_f64 v[70:71], v[70:71], s[26:27], -v[82:83]
	v_add_f64 v[74:75], v[24:25], -v[26:27]
	v_add_f64 v[72:73], v[30:31], -v[24:25]
	;; [unrolled: 1-line block ×3, first 2 shown]
	v_add_f64 v[36:37], v[30:31], v[24:25]
	v_add_f64 v[24:25], v[4:5], v[38:39]
	v_mul_f64 v[4:5], v[64:65], s[6:7]
	v_mul_f64 v[64:65], v[44:45], s[4:5]
	v_add_f64 v[30:31], v[26:27], -v[30:31]
	v_mul_f64 v[82:83], v[74:75], s[10:11]
	v_mul_f64 v[72:73], v[72:73], s[14:15]
	v_fma_f64 v[68:69], v[46:47], s[24:25], v[86:87]
	v_add_f64 v[26:27], v[36:37], v[26:27]
	v_fma_f64 v[36:37], v[38:39], s[16:17], v[24:25]
	v_fma_f64 v[38:39], v[44:45], s[4:5], v[4:5]
	v_fma_f64 v[44:45], v[34:35], s[18:19], -v[64:65]
	v_fma_f64 v[4:5], v[34:35], s[20:21], -v[4:5]
	v_fma_f64 v[66:67], v[46:47], s[24:25], v[66:67]
	v_fma_f64 v[34:35], v[30:31], s[22:23], v[72:73]
	v_fma_f64 v[30:31], v[30:31], s[26:27], -v[82:83]
	v_fma_f64 v[64:65], v[74:75], s[10:11], -v[72:73]
	v_fma_f64 v[46:47], v[46:47], s[24:25], v[70:71]
	v_add_f64 v[72:73], v[38:39], v[36:37]
	v_add_f64 v[44:45], v[44:45], v[36:37]
	;; [unrolled: 1-line block ×4, first 2 shown]
	v_fma_f64 v[74:75], v[26:27], s[24:25], v[34:35]
	v_fma_f64 v[34:35], v[26:27], s[24:25], v[30:31]
	;; [unrolled: 1-line block ×3, first 2 shown]
	v_add_f64 v[70:71], v[76:77], -v[68:69]
	v_add_f64 v[86:87], v[28:29], -v[46:47]
	v_add_f64 v[94:95], v[66:67], v[32:33]
	v_add_f64 v[82:83], v[32:33], -v[66:67]
	v_add_f64 v[28:29], v[46:47], v[28:29]
	v_add_f64 v[30:31], v[68:69], v[76:77]
	v_add_f64 v[26:27], v[72:73], -v[74:75]
	v_add_f64 v[36:37], v[4:5], -v[34:35]
	v_add_f64 v[38:39], v[64:65], v[44:45]
	v_add_f64 v[32:33], v[44:45], -v[64:65]
	v_add_f64 v[34:35], v[34:35], v[4:5]
	v_add_f64 v[4:5], v[74:75], v[72:73]
	ds_write2_b64 v131, v[114:115], v[78:79] offset1:12
	ds_write2_b64 v131, v[98:99], v[102:103] offset0:24 offset1:36
	ds_write2_b64 v131, v[100:101], v[90:91] offset0:48 offset1:60
	ds_write_b64 v131, v[92:93] offset:576
	ds_write2_b64 v132, v[88:89], v[70:71] offset1:12
	ds_write2_b64 v132, v[86:87], v[94:95] offset0:24 offset1:36
	ds_write2_b64 v132, v[82:83], v[28:29] offset0:48 offset1:60
	ds_write_b64 v132, v[30:31] offset:576
	;; [unrolled: 4-line block ×3, first 2 shown]
	v_add_u32_e32 v89, 0x800, v128
	v_add_u32_e32 v88, 0x1000, v128
	s_waitcnt lgkmcnt(0)
	; wave barrier
	s_waitcnt lgkmcnt(0)
	ds_read2_b64 v[44:47], v128 offset1:84
	ds_read2_b64 v[64:67], v128 offset0:168 offset1:252
	ds_read2_b64 v[72:75], v89 offset0:80 offset1:164
	;; [unrolled: 1-line block ×4, first 2 shown]
	ds_read_b64 v[86:87], v128 offset:6720
	s_and_saveexec_b64 s[4:5], s[0:1]
	s_cbranch_execz .LBB0_31
; %bb.30:
	v_add_u32_e32 v4, 0xc00, v128
	ds_read_b64 v[82:83], v129
	ds_read2_b64 v[28:31], v128 offset0:128 offset1:212
	ds_read2_b64 v[24:27], v89 offset0:40 offset1:124
	;; [unrolled: 1-line block ×4, first 2 shown]
	v_add_u32_e32 v4, 0x1800, v128
	ds_read2_b64 v[4:7], v4 offset0:32 offset1:116
.LBB0_31:
	s_or_b64 exec, exec, s[4:5]
	s_and_saveexec_b64 s[4:5], vcc
	s_cbranch_execz .LBB0_34
; %bb.32:
	v_mul_u32_u24_e32 v88, 10, v126
	v_lshlrev_b32_e32 v128, 4, v88
	global_load_dwordx4 v[88:91], v128, s[8:9] offset:1376
	global_load_dwordx4 v[92:95], v128, s[8:9] offset:1392
	;; [unrolled: 1-line block ×9, first 2 shown]
	s_nop 0
	global_load_dwordx4 v[128:131], v128, s[8:9] offset:1456
	s_mov_b32 s24, 0xfd768dbf
	s_mov_b32 s25, 0xbfd207e7
	;; [unrolled: 1-line block ×28, first 2 shown]
	s_waitcnt vmcnt(9) lgkmcnt(3)
	v_mul_f64 v[132:133], v[74:75], v[90:91]
	s_waitcnt vmcnt(8) lgkmcnt(2)
	v_mul_f64 v[134:135], v[76:77], v[94:95]
	v_mul_f64 v[90:91], v[58:59], v[90:91]
	;; [unrolled: 1-line block ×3, first 2 shown]
	s_waitcnt vmcnt(5)
	v_mul_f64 v[140:141], v[66:67], v[106:107]
	v_mul_f64 v[106:107], v[50:51], v[106:107]
	;; [unrolled: 1-line block ×4, first 2 shown]
	s_waitcnt vmcnt(1)
	v_mul_f64 v[148:149], v[46:47], v[124:125]
	s_waitcnt vmcnt(0) lgkmcnt(0)
	v_mul_f64 v[150:151], v[86:87], v[130:131]
	v_mul_f64 v[124:125], v[42:43], v[124:125]
	;; [unrolled: 1-line block ×7, first 2 shown]
	v_fma_f64 v[132:133], v[58:59], v[88:89], v[132:133]
	v_fma_f64 v[134:135], v[60:61], v[92:93], v[134:135]
	v_fma_f64 v[88:89], v[74:75], v[88:89], -v[90:91]
	v_fma_f64 v[74:75], v[66:67], v[104:105], -v[106:107]
	v_fma_f64 v[106:107], v[42:43], v[122:123], v[148:149]
	v_fma_f64 v[42:43], v[84:85], v[128:129], v[150:151]
	v_fma_f64 v[84:85], v[46:47], v[122:123], -v[124:125]
	v_fma_f64 v[60:61], v[86:87], v[128:129], -v[130:131]
	v_mul_f64 v[136:137], v[72:73], v[98:99]
	v_mul_f64 v[98:99], v[56:57], v[98:99]
	;; [unrolled: 1-line block ×4, first 2 shown]
	v_fma_f64 v[92:93], v[76:77], v[92:93], -v[94:95]
	v_fma_f64 v[78:79], v[78:79], v[100:101], -v[102:103]
	v_fma_f64 v[90:91], v[50:51], v[104:105], v[140:141]
	v_fma_f64 v[76:77], v[48:49], v[114:115], v[144:145]
	;; [unrolled: 1-line block ×3, first 2 shown]
	v_fma_f64 v[102:103], v[64:65], v[114:115], -v[116:117]
	v_fma_f64 v[104:105], v[70:71], v[118:119], -v[120:121]
	v_add_f64 v[124:125], v[106:107], -v[42:43]
	v_add_f64 v[154:155], v[84:85], -v[60:61]
	v_fma_f64 v[94:95], v[56:57], v[96:97], v[136:137]
	v_fma_f64 v[136:137], v[62:63], v[100:101], v[138:139]
	v_fma_f64 v[96:97], v[72:73], v[96:97], -v[98:99]
	v_fma_f64 v[98:99], v[52:53], v[108:109], v[142:143]
	v_fma_f64 v[100:101], v[68:69], v[108:109], -v[110:111]
	v_add_f64 v[120:121], v[76:77], -v[58:59]
	v_add_f64 v[128:129], v[84:85], v[60:61]
	v_add_f64 v[150:151], v[102:103], -v[104:105]
	v_add_f64 v[152:153], v[106:107], v[42:43]
	v_mul_f64 v[54:55], v[124:125], s[24:25]
	v_mul_f64 v[68:69], v[154:155], s[24:25]
	v_add_f64 v[86:87], v[132:133], -v[134:135]
	v_add_f64 v[116:117], v[90:91], -v[98:99]
	v_add_f64 v[122:123], v[102:103], v[104:105]
	v_add_f64 v[138:139], v[88:89], -v[92:93]
	v_add_f64 v[146:147], v[74:75], -v[100:101]
	v_add_f64 v[148:149], v[76:77], v[58:59]
	v_mul_f64 v[52:53], v[120:121], s[20:21]
	v_mul_f64 v[66:67], v[150:151], s[20:21]
	v_fma_f64 v[166:167], v[128:129], s[28:29], v[54:55]
	v_fma_f64 v[168:169], v[152:153], s[28:29], -v[68:69]
	v_add_f64 v[108:109], v[88:89], v[92:93]
	v_add_f64 v[110:111], v[94:95], -v[136:137]
	v_add_f64 v[118:119], v[74:75], v[100:101]
	v_add_f64 v[130:131], v[132:133], v[134:135]
	v_add_f64 v[142:143], v[96:97], -v[78:79]
	v_add_f64 v[144:145], v[90:91], v[98:99]
	v_mul_f64 v[46:47], v[86:87], s[4:5]
	v_mul_f64 v[50:51], v[116:117], s[16:17]
	;; [unrolled: 1-line block ×5, first 2 shown]
	v_fma_f64 v[176:177], v[122:123], s[22:23], v[52:53]
	v_fma_f64 v[178:179], v[148:149], s[22:23], -v[66:67]
	v_fma_f64 v[54:55], v[128:129], s[28:29], -v[54:55]
	v_add_f64 v[166:167], v[44:45], v[166:167]
	v_add_f64 v[168:169], v[40:41], v[168:169]
	;; [unrolled: 1-line block ×4, first 2 shown]
	v_mul_f64 v[48:49], v[110:111], s[10:11]
	v_mul_f64 v[62:63], v[142:143], s[10:11]
	;; [unrolled: 1-line block ×3, first 2 shown]
	v_fma_f64 v[170:171], v[108:109], s[6:7], v[46:47]
	v_fma_f64 v[174:175], v[118:119], s[18:19], v[50:51]
	v_fma_f64 v[180:181], v[130:131], s[6:7], -v[56:57]
	v_fma_f64 v[184:185], v[144:145], s[18:19], -v[64:65]
	;; [unrolled: 1-line block ×4, first 2 shown]
	v_add_f64 v[52:53], v[44:45], v[54:55]
	v_add_f64 v[54:55], v[176:177], v[166:167]
	;; [unrolled: 1-line block ×3, first 2 shown]
	v_fma_f64 v[68:69], v[152:153], s[28:29], v[68:69]
	v_fma_f64 v[168:169], v[130:131], s[6:7], v[56:57]
	;; [unrolled: 1-line block ×3, first 2 shown]
	v_mul_f64 v[72:73], v[116:117], s[30:31]
	v_mul_f64 v[164:165], v[154:155], s[16:17]
	v_fma_f64 v[172:173], v[114:115], s[14:15], v[48:49]
	v_fma_f64 v[182:183], v[140:141], s[14:15], -v[62:63]
	v_fma_f64 v[50:51], v[118:119], s[18:19], -v[50:51]
	v_add_f64 v[46:47], v[46:47], v[52:53]
	v_add_f64 v[52:53], v[174:175], v[54:55]
	;; [unrolled: 1-line block ×3, first 2 shown]
	v_fma_f64 v[66:67], v[148:149], s[22:23], v[66:67]
	v_add_f64 v[68:69], v[40:41], v[68:69]
	v_fma_f64 v[166:167], v[122:123], s[6:7], v[156:157]
	v_add_f64 v[56:57], v[44:45], v[56:57]
	v_mul_f64 v[70:71], v[110:111], s[24:25]
	v_mul_f64 v[162:163], v[150:151], s[26:27]
	v_fma_f64 v[48:49], v[114:115], s[14:15], -v[48:49]
	v_add_f64 v[46:47], v[50:51], v[46:47]
	v_add_f64 v[50:51], v[172:173], v[52:53]
	;; [unrolled: 1-line block ×3, first 2 shown]
	v_fma_f64 v[54:55], v[144:145], s[18:19], v[64:65]
	v_fma_f64 v[64:65], v[152:153], s[18:19], -v[164:165]
	v_add_f64 v[66:67], v[66:67], v[68:69]
	v_fma_f64 v[68:69], v[118:119], s[22:23], v[72:73]
	v_add_f64 v[56:57], v[166:167], v[56:57]
	v_mul_f64 v[160:161], v[146:147], s[30:31]
	v_fma_f64 v[62:63], v[140:141], s[14:15], v[62:63]
	v_add_f64 v[166:167], v[48:49], v[46:47]
	v_add_f64 v[48:49], v[170:171], v[50:51]
	;; [unrolled: 1-line block ×3, first 2 shown]
	v_fma_f64 v[50:51], v[148:149], s[6:7], -v[162:163]
	v_add_f64 v[52:53], v[40:41], v[64:65]
	v_add_f64 v[54:55], v[54:55], v[66:67]
	v_mul_f64 v[64:65], v[86:87], s[10:11]
	v_fma_f64 v[66:67], v[128:129], s[18:19], -v[158:159]
	v_fma_f64 v[158:159], v[114:115], s[28:29], v[70:71]
	v_add_f64 v[56:57], v[68:69], v[56:57]
	v_mul_f64 v[68:69], v[142:143], s[24:25]
	v_fma_f64 v[170:171], v[144:145], s[22:23], -v[160:161]
	v_add_f64 v[50:51], v[50:51], v[52:53]
	v_add_f64 v[52:53], v[62:63], v[54:55]
	v_fma_f64 v[54:55], v[122:123], s[6:7], -v[156:157]
	v_add_f64 v[62:63], v[44:45], v[66:67]
	v_fma_f64 v[66:67], v[108:109], s[14:15], v[64:65]
	v_add_f64 v[156:157], v[158:159], v[56:57]
	v_mul_f64 v[158:159], v[138:139], s[10:11]
	v_fma_f64 v[172:173], v[140:141], s[28:29], -v[68:69]
	v_add_f64 v[50:51], v[170:171], v[50:51]
	v_fma_f64 v[72:73], v[118:119], s[22:23], -v[72:73]
	v_fma_f64 v[70:71], v[114:115], s[28:29], -v[70:71]
	v_add_f64 v[62:63], v[54:55], v[62:63]
	v_add_f64 v[54:55], v[168:169], v[52:53]
	;; [unrolled: 1-line block ×3, first 2 shown]
	v_fma_f64 v[66:67], v[152:153], s[18:19], v[164:165]
	v_fma_f64 v[156:157], v[130:131], s[14:15], -v[158:159]
	v_add_f64 v[50:51], v[172:173], v[50:51]
	v_mul_f64 v[164:165], v[124:125], s[4:5]
	v_add_f64 v[56:57], v[186:187], v[166:167]
	v_add_f64 v[62:63], v[72:73], v[62:63]
	v_fma_f64 v[72:73], v[148:149], s[6:7], v[162:163]
	v_fma_f64 v[64:65], v[108:109], s[14:15], -v[64:65]
	v_add_f64 v[66:67], v[40:41], v[66:67]
	v_mul_f64 v[162:163], v[120:121], s[34:35]
	v_add_f64 v[50:51], v[156:157], v[50:51]
	v_fma_f64 v[166:167], v[128:129], s[6:7], v[164:165]
	v_mul_f64 v[156:157], v[154:155], s[4:5]
	v_add_f64 v[62:63], v[70:71], v[62:63]
	v_fma_f64 v[70:71], v[144:145], s[22:23], v[160:161]
	v_fma_f64 v[158:159], v[130:131], s[14:15], v[158:159]
	v_add_f64 v[66:67], v[72:73], v[66:67]
	v_mul_f64 v[72:73], v[116:117], s[10:11]
	v_fma_f64 v[160:161], v[122:123], s[28:29], v[162:163]
	v_add_f64 v[166:167], v[44:45], v[166:167]
	v_fma_f64 v[168:169], v[152:153], s[6:7], -v[156:157]
	v_add_f64 v[64:65], v[64:65], v[62:63]
	v_fma_f64 v[62:63], v[140:141], s[28:29], v[68:69]
	v_mul_f64 v[68:69], v[150:151], s[34:35]
	v_add_f64 v[66:67], v[70:71], v[66:67]
	v_mul_f64 v[70:71], v[110:111], s[30:31]
	v_fma_f64 v[170:171], v[118:119], s[14:15], v[72:73]
	v_add_f64 v[160:161], v[160:161], v[166:167]
	v_mul_f64 v[166:167], v[146:147], s[10:11]
	v_add_f64 v[168:169], v[40:41], v[168:169]
	v_mul_f64 v[174:175], v[86:87], s[16:17]
	v_fma_f64 v[172:173], v[148:149], s[28:29], -v[68:69]
	v_add_f64 v[62:63], v[62:63], v[66:67]
	v_fma_f64 v[66:67], v[114:115], s[22:23], v[70:71]
	v_mul_f64 v[176:177], v[142:143], s[30:31]
	v_add_f64 v[160:161], v[170:171], v[160:161]
	v_fma_f64 v[178:179], v[144:145], s[14:15], -v[166:167]
	v_fma_f64 v[156:157], v[152:153], s[6:7], v[156:157]
	v_mul_f64 v[170:171], v[138:139], s[16:17]
	v_add_f64 v[168:169], v[172:173], v[168:169]
	v_add_f64 v[62:63], v[158:159], v[62:63]
	v_fma_f64 v[158:159], v[128:129], s[6:7], -v[164:165]
	v_fma_f64 v[164:165], v[108:109], s[18:19], v[174:175]
	v_add_f64 v[66:67], v[66:67], v[160:161]
	v_fma_f64 v[172:173], v[140:141], s[22:23], -v[176:177]
	v_fma_f64 v[162:163], v[122:123], s[28:29], -v[162:163]
	v_fma_f64 v[180:181], v[148:149], s[28:29], v[68:69]
	v_add_f64 v[168:169], v[178:179], v[168:169]
	v_mul_f64 v[178:179], v[124:125], s[36:37]
	v_add_f64 v[158:159], v[44:45], v[158:159]
	v_add_f64 v[156:157], v[40:41], v[156:157]
	v_fma_f64 v[160:161], v[130:131], s[18:19], -v[170:171]
	v_fma_f64 v[72:73], v[118:119], s[14:15], -v[72:73]
	v_add_f64 v[68:69], v[164:165], v[66:67]
	v_fma_f64 v[166:167], v[144:145], s[14:15], v[166:167]
	v_add_f64 v[168:169], v[172:173], v[168:169]
	v_fma_f64 v[164:165], v[128:129], s[14:15], v[178:179]
	v_add_f64 v[158:159], v[162:163], v[158:159]
	v_mul_f64 v[162:163], v[120:121], s[16:17]
	v_add_f64 v[156:157], v[180:181], v[156:157]
	v_fma_f64 v[70:71], v[114:115], s[22:23], -v[70:71]
	v_mul_f64 v[172:173], v[154:155], s[36:37]
	v_mul_f64 v[124:125], v[124:125], s[30:31]
	v_add_f64 v[66:67], v[160:161], v[168:169]
	v_add_f64 v[164:165], v[44:45], v[164:165]
	;; [unrolled: 1-line block ×3, first 2 shown]
	v_mul_f64 v[158:159], v[116:117], s[34:35]
	v_fma_f64 v[160:161], v[122:123], s[18:19], v[162:163]
	v_fma_f64 v[168:169], v[140:141], s[22:23], v[176:177]
	v_add_f64 v[156:157], v[166:167], v[156:157]
	v_fma_f64 v[166:167], v[108:109], s[18:19], -v[174:175]
	v_mul_f64 v[174:175], v[110:111], s[26:27]
	v_fma_f64 v[178:179], v[128:129], s[14:15], -v[178:179]
	v_add_f64 v[70:71], v[70:71], v[72:73]
	v_fma_f64 v[176:177], v[118:119], s[28:29], v[158:159]
	v_add_f64 v[160:161], v[160:161], v[164:165]
	v_fma_f64 v[164:165], v[130:131], s[18:19], v[170:171]
	v_add_f64 v[156:157], v[168:169], v[156:157]
	v_mul_f64 v[168:169], v[150:151], s[16:17]
	v_fma_f64 v[170:171], v[152:153], s[14:15], -v[172:173]
	v_fma_f64 v[180:181], v[114:115], s[6:7], v[174:175]
	v_add_f64 v[72:73], v[166:167], v[70:71]
	v_fma_f64 v[172:173], v[152:153], s[14:15], v[172:173]
	v_add_f64 v[160:161], v[176:177], v[160:161]
	v_mul_f64 v[176:177], v[146:147], s[34:35]
	v_add_f64 v[70:71], v[164:165], v[156:157]
	v_fma_f64 v[156:157], v[148:149], s[18:19], -v[168:169]
	v_add_f64 v[164:165], v[40:41], v[170:171]
	v_fma_f64 v[162:163], v[122:123], s[18:19], -v[162:163]
	v_mul_f64 v[120:121], v[120:121], s[36:37]
	v_fma_f64 v[188:189], v[128:129], s[22:23], v[124:125]
	v_add_f64 v[160:161], v[180:181], v[160:161]
	v_fma_f64 v[180:181], v[144:145], s[28:29], -v[176:177]
	v_add_f64 v[178:179], v[44:45], v[178:179]
	v_mul_f64 v[166:167], v[86:87], s[20:21]
	v_add_f64 v[156:157], v[156:157], v[164:165]
	v_add_f64 v[84:85], v[44:45], v[84:85]
	v_fma_f64 v[168:169], v[148:149], s[18:19], v[168:169]
	v_add_f64 v[172:173], v[40:41], v[172:173]
	v_fma_f64 v[158:159], v[118:119], s[28:29], -v[158:159]
	v_mul_f64 v[116:117], v[116:117], s[4:5]
	v_add_f64 v[188:189], v[44:45], v[188:189]
	v_add_f64 v[162:163], v[162:163], v[178:179]
	v_add_f64 v[156:157], v[180:181], v[156:157]
	v_fma_f64 v[180:181], v[122:123], s[14:15], v[120:121]
	v_add_f64 v[106:107], v[40:41], v[106:107]
	v_fma_f64 v[182:183], v[108:109], s[22:23], v[166:167]
	v_add_f64 v[84:85], v[102:103], v[84:85]
	;; [unrolled: 2-line block ×3, first 2 shown]
	v_fma_f64 v[172:173], v[114:115], s[6:7], -v[174:175]
	v_mul_f64 v[110:111], v[110:111], s[16:17]
	v_fma_f64 v[174:175], v[118:119], s[6:7], v[116:117]
	v_add_f64 v[178:179], v[180:181], v[188:189]
	v_add_f64 v[158:159], v[158:159], v[162:163]
	;; [unrolled: 1-line block ×5, first 2 shown]
	v_mul_f64 v[170:171], v[138:139], s[20:21]
	v_add_f64 v[168:169], v[176:177], v[168:169]
	v_mul_f64 v[176:177], v[86:87], s[24:25]
	v_fma_f64 v[86:87], v[114:115], s[18:19], v[110:111]
	v_add_f64 v[174:175], v[174:175], v[178:179]
	v_fma_f64 v[166:167], v[108:109], s[22:23], -v[166:167]
	v_add_f64 v[102:103], v[172:173], v[158:159]
	v_mul_f64 v[154:155], v[154:155], s[30:31]
	v_add_f64 v[106:107], v[90:91], v[106:107]
	v_add_f64 v[96:97], v[96:97], v[160:161]
	v_fma_f64 v[164:165], v[130:131], s[22:23], -v[170:171]
	v_fma_f64 v[158:159], v[130:131], s[22:23], v[170:171]
	v_add_f64 v[170:171], v[86:87], v[174:175]
	v_fma_f64 v[124:125], v[128:129], s[22:23], -v[124:125]
	v_add_f64 v[86:87], v[166:167], v[102:103]
	v_mul_f64 v[102:103], v[138:139], s[24:25]
	v_mul_f64 v[138:139], v[150:151], s[36:37]
	v_fma_f64 v[150:151], v[152:153], s[22:23], -v[154:155]
	v_add_f64 v[94:95], v[94:95], v[106:107]
	v_add_f64 v[88:89], v[88:89], v[96:97]
	v_mul_f64 v[184:185], v[142:143], s[26:27]
	v_mul_f64 v[106:107], v[142:143], s[16:17]
	v_fma_f64 v[142:143], v[152:153], s[22:23], v[154:155]
	v_mul_f64 v[128:129], v[146:147], s[4:5]
	v_fma_f64 v[96:97], v[148:149], s[14:15], -v[138:139]
	v_add_f64 v[146:147], v[40:41], v[150:151]
	v_add_f64 v[94:95], v[132:133], v[94:95]
	v_fma_f64 v[120:121], v[122:123], s[14:15], -v[120:121]
	v_add_f64 v[44:45], v[44:45], v[124:125]
	v_add_f64 v[88:89], v[92:93], v[88:89]
	v_fma_f64 v[122:123], v[148:149], s[14:15], v[138:139]
	v_add_f64 v[40:41], v[40:41], v[142:143]
	v_fma_f64 v[92:93], v[144:145], s[6:7], -v[128:129]
	v_add_f64 v[96:97], v[96:97], v[146:147]
	v_add_f64 v[94:95], v[134:135], v[94:95]
	v_fma_f64 v[116:117], v[118:119], s[6:7], -v[116:117]
	v_add_f64 v[44:45], v[120:121], v[44:45]
	v_add_f64 v[78:79], v[78:79], v[88:89]
	v_fma_f64 v[118:119], v[144:145], s[6:7], v[128:129]
	v_add_f64 v[40:41], v[122:123], v[40:41]
	;; [unrolled: 8-line block ×4, first 2 shown]
	v_mad_u64_u32 v[98:99], s[38:39], s2, v126, 0
	v_add_f64 v[58:59], v[58:59], v[92:93]
	v_add_f64 v[88:89], v[100:101], v[88:89]
	;; [unrolled: 1-line block ×3, first 2 shown]
	v_mov_b32_e32 v44, v99
	v_mad_u64_u32 v[99:100], s[38:39], s3, v126, v[44:45]
	v_add_f64 v[44:45], v[60:61], v[78:79]
	v_add_u32_e32 v78, 0x54, v126
	v_fma_f64 v[162:163], v[140:141], s[6:7], v[184:185]
	v_add_f64 v[92:93], v[96:97], v[40:41]
	v_mov_b32_e32 v41, s13
	v_add_co_u32_e32 v40, vcc, s12, v112
	v_mad_u64_u32 v[60:61], s[12:13], s2, v78, 0
	v_add_f64 v[42:43], v[42:43], v[58:59]
	v_lshlrev_b64 v[58:59], 4, v[98:99]
	v_mad_u64_u32 v[78:79], s[12:13], s3, v78, v[61:62]
	v_add_u32_e32 v79, 0xa8, v126
	v_mad_u64_u32 v[96:97], s[12:13], s2, v79, 0
	v_addc_co_u32_e32 v41, vcc, v41, v113, vcc
	v_add_f64 v[162:163], v[162:163], v[168:169]
	v_add_co_u32_e32 v58, vcc, v40, v58
	v_addc_co_u32_e32 v59, vcc, v41, v59, vcc
	global_store_dwordx4 v[58:59], v[42:45], off
	v_add_u32_e32 v58, 0xfc, v126
	v_mov_b32_e32 v44, v97
	v_mad_u64_u32 v[44:45], s[12:13], s3, v79, v[44:45]
	v_mov_b32_e32 v61, v78
	v_add_f64 v[84:85], v[158:159], v[162:163]
	v_mov_b32_e32 v97, v44
	v_mad_u64_u32 v[44:45], s[12:13], s2, v58, 0
	v_lshlrev_b64 v[42:43], 4, v[60:61]
	v_add_u32_e32 v61, 0x150, v126
	v_add_co_u32_e32 v42, vcc, v40, v42
	v_addc_co_u32_e32 v43, vcc, v41, v43, vcc
	v_mad_u64_u32 v[58:59], s[12:13], s3, v58, v[45:46]
	global_store_dwordx4 v[42:43], v[92:95], off
	v_lshlrev_b64 v[42:43], 4, v[96:97]
	v_mad_u64_u32 v[59:60], s[12:13], s2, v61, 0
	v_add_co_u32_e32 v42, vcc, v40, v42
	v_addc_co_u32_e32 v43, vcc, v41, v43, vcc
	v_mov_b32_e32 v45, v58
	global_store_dwordx4 v[42:43], v[84:87], off
	v_lshlrev_b64 v[42:43], 4, v[44:45]
	v_mov_b32_e32 v44, v60
	v_mad_u64_u32 v[44:45], s[12:13], s3, v61, v[44:45]
	v_add_u32_e32 v58, 0x1a4, v126
	v_add_co_u32_e32 v42, vcc, v40, v42
	v_mov_b32_e32 v60, v44
	v_mad_u64_u32 v[44:45], s[12:13], s2, v58, 0
	v_addc_co_u32_e32 v43, vcc, v41, v43, vcc
	global_store_dwordx4 v[42:43], v[70:73], off
	v_lshlrev_b64 v[42:43], 4, v[59:60]
	v_mad_u64_u32 v[58:59], s[12:13], s3, v58, v[45:46]
	v_add_u32_e32 v61, 0x1f8, v126
	v_mad_u64_u32 v[59:60], s[12:13], s2, v61, 0
	v_add_co_u32_e32 v42, vcc, v40, v42
	v_addc_co_u32_e32 v43, vcc, v41, v43, vcc
	v_mov_b32_e32 v45, v58
	global_store_dwordx4 v[42:43], v[62:65], off
	v_lshlrev_b64 v[42:43], 4, v[44:45]
	v_mov_b32_e32 v44, v60
	v_mad_u64_u32 v[44:45], s[12:13], s3, v61, v[44:45]
	v_add_co_u32_e32 v42, vcc, v40, v42
	v_addc_co_u32_e32 v43, vcc, v41, v43, vcc
	global_store_dwordx4 v[42:43], v[54:57], off
	v_mov_b32_e32 v60, v44
	v_add_u32_e32 v54, 0x24c, v126
	v_mad_u64_u32 v[44:45], s[12:13], s2, v54, 0
	v_add_u32_e32 v57, 0x2a0, v126
	v_fma_f64 v[186:187], v[140:141], s[6:7], -v[184:185]
	v_mad_u64_u32 v[54:55], s[12:13], s3, v54, v[45:46]
	v_lshlrev_b64 v[42:43], 4, v[59:60]
	v_mad_u64_u32 v[55:56], s[12:13], s2, v57, 0
	v_add_co_u32_e32 v42, vcc, v40, v42
	v_addc_co_u32_e32 v43, vcc, v41, v43, vcc
	v_mov_b32_e32 v45, v54
	global_store_dwordx4 v[42:43], v[46:49], off
	v_lshlrev_b64 v[42:43], 4, v[44:45]
	v_mov_b32_e32 v44, v56
	v_mad_u64_u32 v[44:45], s[12:13], s3, v57, v[44:45]
	v_add_f64 v[156:157], v[186:187], v[156:157]
	v_add_u32_e32 v46, 0x2f4, v126
	v_mov_b32_e32 v56, v44
	v_mad_u64_u32 v[44:45], s[12:13], s2, v46, 0
	v_fma_f64 v[168:169], v[108:109], s[28:29], v[176:177]
	v_add_co_u32_e32 v42, vcc, v40, v42
	v_addc_co_u32_e32 v43, vcc, v41, v43, vcc
	v_mad_u64_u32 v[45:46], s[12:13], s3, v46, v[45:46]
	v_add_u32_e32 v48, 0x348, v126
	global_store_dwordx4 v[42:43], v[50:53], off
	v_lshlrev_b64 v[42:43], 4, v[55:56]
	v_mad_u64_u32 v[46:47], s[12:13], s2, v48, 0
	v_add_f64 v[74:75], v[164:165], v[156:157]
	v_add_co_u32_e32 v42, vcc, v40, v42
	v_addc_co_u32_e32 v43, vcc, v41, v43, vcc
	global_store_dwordx4 v[42:43], v[66:69], off
	v_lshlrev_b64 v[42:43], 4, v[44:45]
	v_mov_b32_e32 v44, v47
	v_mad_u64_u32 v[44:45], s[12:13], s3, v48, v[44:45]
	v_add_f64 v[90:91], v[168:169], v[170:171]
	v_add_co_u32_e32 v42, vcc, v40, v42
	v_addc_co_u32_e32 v43, vcc, v41, v43, vcc
	v_mov_b32_e32 v47, v44
	global_store_dwordx4 v[42:43], v[74:77], off
	v_lshlrev_b64 v[42:43], 4, v[46:47]
	v_add_co_u32_e32 v42, vcc, v40, v42
	v_addc_co_u32_e32 v43, vcc, v41, v43, vcc
	global_store_dwordx4 v[42:43], v[88:91], off
	s_and_b64 exec, exec, s[0:1]
	s_cbranch_execz .LBB0_34
; %bb.33:
	v_subrev_u32_e32 v42, 40, v126
	v_cndmask_b32_e64 v42, v42, v127, s[0:1]
	v_mul_i32_i24_e32 v42, 10, v42
	v_mov_b32_e32 v43, 0
	v_lshlrev_b64 v[42:43], 4, v[42:43]
	v_mov_b32_e32 v44, s9
	v_add_co_u32_e32 v78, vcc, s8, v42
	v_addc_co_u32_e32 v79, vcc, v44, v43, vcc
	global_load_dwordx4 v[42:45], v[78:79], off offset:1312
	global_load_dwordx4 v[46:49], v[78:79], off offset:1328
	;; [unrolled: 1-line block ×10, first 2 shown]
	s_mov_b32 s1, 0x3fe82f19
	s_mov_b32 s0, s16
	s_waitcnt vmcnt(9)
	v_mul_f64 v[78:79], v[28:29], v[44:45]
	v_mul_f64 v[44:45], v[12:13], v[44:45]
	s_waitcnt vmcnt(8)
	v_mul_f64 v[88:89], v[30:31], v[48:49]
	v_mul_f64 v[48:49], v[14:15], v[48:49]
	;; [unrolled: 3-line block ×5, first 2 shown]
	v_fma_f64 v[12:13], v[12:13], v[42:43], v[78:79]
	v_fma_f64 v[28:29], v[28:29], v[42:43], -v[44:45]
	v_fma_f64 v[14:15], v[14:15], v[46:47], v[88:89]
	v_fma_f64 v[30:31], v[30:31], v[46:47], -v[48:49]
	;; [unrolled: 2-line block ×4, first 2 shown]
	v_add_f64 v[42:43], v[80:81], v[12:13]
	v_add_f64 v[44:45], v[82:83], v[28:29]
	v_fma_f64 v[10:11], v[10:11], v[54:55], v[92:93]
	v_fma_f64 v[26:27], v[26:27], v[54:55], -v[56:57]
	v_mul_f64 v[94:95], v[36:37], v[60:61]
	v_mul_f64 v[60:61], v[16:17], v[60:61]
	v_add_f64 v[50:51], v[14:15], v[0:1]
	v_add_f64 v[52:53], v[30:31], v[4:5]
	v_add_f64 v[54:55], v[14:15], -v[0:1]
	v_add_f64 v[56:57], v[30:31], -v[4:5]
	v_add_f64 v[14:15], v[42:43], v[14:15]
	v_add_f64 v[30:31], v[44:45], v[30:31]
	v_mul_f64 v[96:97], v[38:39], v[64:65]
	v_mul_f64 v[64:65], v[18:19], v[64:65]
	s_waitcnt vmcnt(0)
	v_mul_f64 v[104:105], v[6:7], v[86:87]
	v_mul_f64 v[86:87], v[2:3], v[86:87]
	v_fma_f64 v[16:17], v[16:17], v[58:59], v[94:95]
	v_fma_f64 v[36:37], v[36:37], v[58:59], -v[60:61]
	v_add_f64 v[14:15], v[14:15], v[8:9]
	v_add_f64 v[30:31], v[30:31], v[24:25]
	v_mul_f64 v[98:99], v[32:33], v[68:69]
	v_mul_f64 v[68:69], v[20:21], v[68:69]
	v_fma_f64 v[18:19], v[18:19], v[62:63], v[96:97]
	v_fma_f64 v[38:39], v[38:39], v[62:63], -v[64:65]
	v_fma_f64 v[6:7], v[6:7], v[84:85], -v[86:87]
	v_mul_f64 v[100:101], v[34:35], v[72:73]
	v_add_f64 v[14:15], v[14:15], v[10:11]
	v_add_f64 v[30:31], v[30:31], v[26:27]
	v_mul_f64 v[72:73], v[22:23], v[72:73]
	v_fma_f64 v[20:21], v[20:21], v[66:67], v[98:99]
	v_fma_f64 v[32:33], v[32:33], v[66:67], -v[68:69]
	v_fma_f64 v[2:3], v[2:3], v[84:85], v[104:105]
	v_add_f64 v[48:49], v[28:29], v[6:7]
	v_fma_f64 v[22:23], v[22:23], v[70:71], v[100:101]
	v_add_f64 v[14:15], v[14:15], v[16:17]
	v_add_f64 v[30:31], v[30:31], v[36:37]
	v_fma_f64 v[34:35], v[34:35], v[70:71], -v[72:73]
	v_add_f64 v[28:29], v[28:29], -v[6:7]
	v_mul_f64 v[76:77], v[52:53], s[18:19]
	v_add_f64 v[46:47], v[12:13], v[2:3]
	v_add_f64 v[12:13], v[12:13], -v[2:3]
	v_mul_f64 v[60:61], v[48:49], s[14:15]
	v_add_f64 v[14:15], v[14:15], v[18:19]
	v_add_f64 v[30:31], v[30:31], v[38:39]
	v_mul_f64 v[68:69], v[48:49], s[18:19]
	v_mul_f64 v[62:63], v[28:29], s[4:5]
	;; [unrolled: 1-line block ×5, first 2 shown]
	v_fma_f64 v[96:97], v[12:13], s[10:11], v[60:61]
	v_add_f64 v[14:15], v[14:15], v[20:21]
	v_add_f64 v[30:31], v[30:31], v[32:33]
	v_fma_f64 v[60:61], v[12:13], s[36:37], v[60:61]
	v_mul_f64 v[58:59], v[28:29], s[36:37]
	v_mul_f64 v[64:65], v[48:49], s[6:7]
	;; [unrolled: 1-line block ×5, first 2 shown]
	v_add_f64 v[14:15], v[14:15], v[22:23]
	v_add_f64 v[30:31], v[30:31], v[34:35]
	v_mul_f64 v[86:87], v[56:57], s[26:27]
	v_mul_f64 v[88:89], v[52:53], s[6:7]
	v_fma_f64 v[98:99], v[46:47], s[6:7], v[62:63]
	v_fma_f64 v[62:63], v[46:47], s[6:7], -v[62:63]
	v_fma_f64 v[102:103], v[46:47], s[18:19], v[66:67]
	v_fma_f64 v[104:105], v[12:13], s[0:1], v[68:69]
	v_fma_f64 v[66:67], v[46:47], s[18:19], -v[66:67]
	v_fma_f64 v[68:69], v[12:13], s[16:17], v[68:69]
	v_fma_f64 v[112:113], v[54:55], s[0:1], v[76:77]
	v_fma_f64 v[76:77], v[54:55], s[16:17], v[76:77]
	v_add_f64 v[60:61], v[82:83], v[60:61]
	v_add_f64 v[0:1], v[14:15], v[0:1]
	;; [unrolled: 1-line block ×3, first 2 shown]
	v_mul_f64 v[70:71], v[56:57], s[36:37]
	v_mul_f64 v[72:73], v[52:53], s[14:15]
	;; [unrolled: 1-line block ×3, first 2 shown]
	v_fma_f64 v[90:91], v[46:47], s[22:23], v[42:43]
	v_fma_f64 v[92:93], v[12:13], s[20:21], v[44:45]
	v_fma_f64 v[42:43], v[46:47], s[22:23], -v[42:43]
	v_fma_f64 v[94:95], v[46:47], s[14:15], v[58:59]
	v_fma_f64 v[58:59], v[46:47], s[14:15], -v[58:59]
	v_fma_f64 v[100:101], v[12:13], s[26:27], v[64:65]
	v_fma_f64 v[64:65], v[12:13], s[4:5], v[64:65]
	;; [unrolled: 1-line block ×4, first 2 shown]
	v_fma_f64 v[28:29], v[46:47], s[28:29], -v[28:29]
	v_fma_f64 v[114:115], v[50:51], s[28:29], v[78:79]
	v_fma_f64 v[78:79], v[50:51], s[28:29], -v[78:79]
	v_fma_f64 v[118:119], v[50:51], s[6:7], v[86:87]
	v_fma_f64 v[86:87], v[50:51], s[6:7], -v[86:87]
	v_add_f64 v[62:63], v[80:81], v[62:63]
	v_add_f64 v[66:67], v[80:81], v[66:67]
	;; [unrolled: 1-line block ×6, first 2 shown]
	v_fma_f64 v[4:5], v[54:55], s[26:27], v[88:89]
	v_mul_f64 v[6:7], v[56:57], s[20:21]
	v_mul_f64 v[52:53], v[52:53], s[22:23]
	v_add_f64 v[76:77], v[24:25], -v[34:35]
	v_add_f64 v[24:25], v[24:25], v[34:35]
	v_mul_f64 v[74:75], v[56:57], s[16:17]
	v_fma_f64 v[44:45], v[12:13], s[30:31], v[44:45]
	v_fma_f64 v[12:13], v[12:13], s[24:25], v[48:49]
	;; [unrolled: 1-line block ×6, first 2 shown]
	v_add_f64 v[90:91], v[80:81], v[90:91]
	v_add_f64 v[92:93], v[82:83], v[92:93]
	;; [unrolled: 1-line block ×14, first 2 shown]
	v_fma_f64 v[66:67], v[50:51], s[22:23], v[6:7]
	v_fma_f64 v[68:69], v[54:55], s[30:31], v[52:53]
	v_add_f64 v[78:79], v[8:9], v[22:23]
	v_add_f64 v[8:9], v[8:9], -v[22:23]
	v_mul_f64 v[22:23], v[76:77], s[4:5]
	v_mul_f64 v[80:81], v[24:25], s[6:7]
	v_fma_f64 v[70:71], v[50:51], s[14:15], -v[70:71]
	v_fma_f64 v[72:73], v[54:55], s[36:37], v[72:73]
	v_fma_f64 v[110:111], v[50:51], s[18:19], v[74:75]
	v_fma_f64 v[74:75], v[50:51], s[18:19], -v[74:75]
	v_fma_f64 v[120:121], v[54:55], s[4:5], v[88:89]
	v_add_f64 v[44:45], v[82:83], v[44:45]
	v_add_f64 v[96:97], v[82:83], v[96:97]
	;; [unrolled: 1-line block ×8, first 2 shown]
	v_fma_f64 v[6:7], v[50:51], s[22:23], -v[6:7]
	v_fma_f64 v[50:51], v[54:55], s[20:21], v[52:53]
	v_add_f64 v[52:53], v[66:67], v[106:107]
	v_add_f64 v[54:55], v[68:69], v[108:109]
	v_mul_f64 v[66:67], v[76:77], s[34:35]
	v_mul_f64 v[68:69], v[24:25], s[28:29]
	v_fma_f64 v[82:83], v[78:79], s[6:7], v[22:23]
	v_fma_f64 v[84:85], v[8:9], s[26:27], v[80:81]
	v_add_f64 v[42:43], v[70:71], v[42:43]
	v_add_f64 v[44:45], v[72:73], v[44:45]
	v_add_f64 v[70:71], v[110:111], v[94:95]
	v_add_f64 v[72:73], v[112:113], v[96:97]
	v_add_f64 v[6:7], v[6:7], v[28:29]
	v_add_f64 v[12:13], v[50:51], v[12:13]
	v_fma_f64 v[22:23], v[78:79], s[6:7], -v[22:23]
	v_fma_f64 v[28:29], v[8:9], s[4:5], v[80:81]
	v_fma_f64 v[50:51], v[78:79], s[28:29], v[66:67]
	;; [unrolled: 1-line block ×3, first 2 shown]
	v_add_f64 v[46:47], v[82:83], v[46:47]
	v_add_f64 v[48:49], v[84:85], v[48:49]
	v_mul_f64 v[82:83], v[76:77], s[10:11]
	v_mul_f64 v[84:85], v[24:25], s[14:15]
	v_add_f64 v[14:15], v[74:75], v[58:59]
	v_add_f64 v[58:59], v[114:115], v[98:99]
	;; [unrolled: 1-line block ×7, first 2 shown]
	v_fma_f64 v[50:51], v[78:79], s[28:29], -v[66:67]
	v_fma_f64 v[66:67], v[8:9], s[34:35], v[68:69]
	v_fma_f64 v[68:69], v[78:79], s[14:15], v[82:83]
	;; [unrolled: 1-line block ×3, first 2 shown]
	v_mul_f64 v[72:73], v[76:77], s[30:31]
	v_mul_f64 v[80:81], v[24:25], s[22:23]
	v_add_f64 v[56:57], v[118:119], v[102:103]
	v_add_f64 v[74:75], v[120:121], v[104:105]
	;; [unrolled: 1-line block ×6, first 2 shown]
	v_fma_f64 v[60:61], v[78:79], s[22:23], v[72:73]
	v_fma_f64 v[66:67], v[8:9], s[20:21], v[80:81]
	v_mul_f64 v[68:69], v[76:77], s[16:17]
	v_mul_f64 v[24:25], v[24:25], s[18:19]
	v_fma_f64 v[70:71], v[78:79], s[22:23], -v[72:73]
	v_fma_f64 v[72:73], v[8:9], s[30:31], v[80:81]
	v_fma_f64 v[84:85], v[8:9], s[10:11], v[84:85]
	v_fma_f64 v[82:83], v[78:79], s[14:15], -v[82:83]
	v_add_f64 v[56:57], v[60:61], v[56:57]
	v_add_f64 v[60:61], v[66:67], v[74:75]
	v_add_f64 v[66:67], v[26:27], -v[32:33]
	v_add_f64 v[26:27], v[26:27], v[32:33]
	v_fma_f64 v[32:33], v[78:79], s[18:19], v[68:69]
	v_fma_f64 v[74:75], v[8:9], s[0:1], v[24:25]
	v_add_f64 v[34:35], v[70:71], v[34:35]
	v_add_f64 v[70:71], v[10:11], v[20:21]
	v_add_f64 v[10:11], v[10:11], -v[20:21]
	v_fma_f64 v[8:9], v[8:9], s[16:17], v[24:25]
	v_mul_f64 v[24:25], v[66:67], s[26:27]
	v_add_f64 v[4:5], v[72:73], v[4:5]
	v_add_f64 v[32:33], v[32:33], v[52:53]
	;; [unrolled: 1-line block ×3, first 2 shown]
	v_fma_f64 v[54:55], v[78:79], s[18:19], -v[68:69]
	v_mul_f64 v[68:69], v[26:27], s[6:7]
	v_mul_f64 v[20:21], v[66:67], s[16:17]
	;; [unrolled: 1-line block ×3, first 2 shown]
	v_add_f64 v[8:9], v[8:9], v[12:13]
	v_fma_f64 v[12:13], v[70:71], s[6:7], v[24:25]
	v_fma_f64 v[24:25], v[70:71], s[6:7], -v[24:25]
	v_add_f64 v[62:63], v[82:83], v[62:63]
	v_add_f64 v[6:7], v[54:55], v[6:7]
	v_fma_f64 v[54:55], v[10:11], s[4:5], v[68:69]
	v_fma_f64 v[74:75], v[70:71], s[18:19], v[20:21]
	;; [unrolled: 1-line block ×3, first 2 shown]
	v_fma_f64 v[20:21], v[70:71], s[18:19], -v[20:21]
	v_fma_f64 v[72:73], v[10:11], s[16:17], v[72:73]
	v_add_f64 v[12:13], v[12:13], v[42:43]
	v_add_f64 v[64:65], v[84:85], v[64:65]
	;; [unrolled: 1-line block ×4, first 2 shown]
	v_fma_f64 v[44:45], v[10:11], s[26:27], v[68:69]
	v_mul_f64 v[68:69], v[26:27], s[28:29]
	v_add_f64 v[20:21], v[20:21], v[22:23]
	v_add_f64 v[22:23], v[72:73], v[28:29]
	v_mul_f64 v[28:29], v[66:67], s[30:31]
	v_mul_f64 v[72:73], v[26:27], s[22:23]
	;; [unrolled: 1-line block ×3, first 2 shown]
	v_add_f64 v[46:47], v[74:75], v[46:47]
	v_add_f64 v[30:31], v[44:45], v[30:31]
	v_fma_f64 v[44:45], v[10:11], s[34:35], v[68:69]
	v_add_f64 v[48:49], v[76:77], v[48:49]
	v_mul_f64 v[26:27], v[26:27], s[14:15]
	v_fma_f64 v[74:75], v[70:71], s[22:23], v[28:29]
	v_fma_f64 v[76:77], v[10:11], s[20:21], v[72:73]
	v_fma_f64 v[28:29], v[70:71], s[22:23], -v[28:29]
	v_fma_f64 v[72:73], v[10:11], s[30:31], v[72:73]
	v_fma_f64 v[14:15], v[70:71], s[28:29], v[54:55]
	v_add_f64 v[44:45], v[44:45], v[60:61]
	v_add_f64 v[60:61], v[36:37], -v[38:39]
	v_add_f64 v[36:37], v[36:37], v[38:39]
	v_fma_f64 v[38:39], v[10:11], s[24:25], v[68:69]
	v_add_f64 v[68:69], v[16:17], v[18:19]
	v_add_f64 v[28:29], v[28:29], v[62:63]
	;; [unrolled: 1-line block ×3, first 2 shown]
	v_mul_f64 v[64:65], v[66:67], s[10:11]
	v_add_f64 v[72:73], v[16:17], -v[18:19]
	v_mul_f64 v[16:17], v[60:61], s[24:25]
	v_add_f64 v[56:57], v[14:15], v[56:57]
	v_fma_f64 v[14:15], v[70:71], s[28:29], -v[54:55]
	v_mul_f64 v[18:19], v[36:37], s[28:29]
	v_fma_f64 v[66:67], v[10:11], s[36:37], v[26:27]
	v_add_f64 v[38:39], v[38:39], v[4:5]
	v_fma_f64 v[54:55], v[70:71], s[14:15], v[64:65]
	v_fma_f64 v[4:5], v[10:11], s[10:11], v[26:27]
	;; [unrolled: 1-line block ×3, first 2 shown]
	v_mul_f64 v[26:27], v[60:61], s[20:21]
	v_add_f64 v[34:35], v[14:15], v[34:35]
	v_fma_f64 v[14:15], v[72:73], s[34:35], v[18:19]
	v_fma_f64 v[16:17], v[68:69], s[28:29], -v[16:17]
	v_fma_f64 v[18:19], v[72:73], s[24:25], v[18:19]
	v_fma_f64 v[64:65], v[70:71], s[14:15], -v[64:65]
	v_add_f64 v[54:55], v[54:55], v[32:33]
	v_mul_f64 v[32:33], v[36:37], s[22:23]
	v_add_f64 v[52:53], v[66:67], v[52:53]
	v_add_f64 v[66:67], v[4:5], v[8:9]
	;; [unrolled: 1-line block ×3, first 2 shown]
	v_mul_f64 v[46:47], v[60:61], s[16:17]
	v_add_f64 v[8:9], v[16:17], v[20:21]
	v_add_f64 v[10:11], v[18:19], v[22:23]
	v_fma_f64 v[16:17], v[68:69], s[22:23], -v[26:27]
	v_mul_f64 v[22:23], v[36:37], s[18:19]
	v_add_f64 v[64:65], v[64:65], v[6:7]
	v_add_f64 v[6:7], v[14:15], v[48:49]
	v_fma_f64 v[14:15], v[68:69], s[22:23], v[26:27]
	v_fma_f64 v[48:49], v[72:73], s[30:31], v[32:33]
	v_add_f64 v[50:51], v[74:75], v[50:51]
	v_fma_f64 v[20:21], v[68:69], s[18:19], v[46:47]
	v_mul_f64 v[26:27], v[60:61], s[10:11]
	v_add_f64 v[58:59], v[76:77], v[58:59]
	v_add_f64 v[16:17], v[16:17], v[24:25]
	v_fma_f64 v[24:25], v[72:73], s[0:1], v[22:23]
	v_fma_f64 v[18:19], v[72:73], s[20:21], v[32:33]
	v_add_f64 v[12:13], v[14:15], v[12:13]
	v_add_f64 v[14:15], v[48:49], v[42:43]
	v_mul_f64 v[42:43], v[36:37], s[14:15]
	v_add_f64 v[20:21], v[20:21], v[50:51]
	v_fma_f64 v[32:33], v[72:73], s[16:17], v[22:23]
	v_fma_f64 v[50:51], v[68:69], s[14:15], -v[26:27]
	v_add_f64 v[22:23], v[24:25], v[58:59]
	v_mul_f64 v[58:59], v[60:61], s[4:5]
	v_add_f64 v[18:19], v[18:19], v[30:31]
	v_fma_f64 v[30:31], v[68:69], s[18:19], -v[46:47]
	v_fma_f64 v[46:47], v[68:69], s[14:15], v[26:27]
	v_fma_f64 v[48:49], v[72:73], s[36:37], v[42:43]
	v_mul_f64 v[36:37], v[36:37], s[6:7]
	v_add_f64 v[26:27], v[32:33], v[62:63]
	v_add_f64 v[32:33], v[50:51], v[34:35]
	v_fma_f64 v[34:35], v[72:73], s[10:11], v[42:43]
	v_fma_f64 v[42:43], v[68:69], s[6:7], v[58:59]
	v_add_f64 v[24:25], v[30:31], v[28:29]
	v_add_f64 v[28:29], v[46:47], v[56:57]
	v_add_u32_e32 v56, 44, v126
	v_add_f64 v[30:31], v[48:49], v[44:45]
	v_mad_u64_u32 v[48:49], s[0:1], s2, v56, 0
	v_fma_f64 v[44:45], v[72:73], s[26:27], v[36:37]
	v_fma_f64 v[50:51], v[72:73], s[4:5], v[36:37]
	v_fma_f64 v[46:47], v[68:69], s[6:7], -v[58:59]
	v_add_f64 v[34:35], v[34:35], v[38:39]
	v_mov_b32_e32 v38, v49
	v_add_f64 v[36:37], v[42:43], v[54:55]
	v_mad_u64_u32 v[54:55], s[0:1], s3, v56, v[38:39]
	v_add_f64 v[38:39], v[44:45], v[52:53]
	v_add_f64 v[44:45], v[50:51], v[66:67]
	v_mov_b32_e32 v49, v54
	v_or_b32_e32 v50, 0x80, v126
	v_add_f64 v[42:43], v[46:47], v[64:65]
	v_lshlrev_b64 v[46:47], 4, v[48:49]
	v_mad_u64_u32 v[48:49], s[0:1], s2, v50, 0
	v_add_u32_e32 v52, 0xd4, v126
	v_add_co_u32_e32 v46, vcc, v40, v46
	v_mad_u64_u32 v[49:50], s[0:1], s3, v50, v[49:50]
	v_mad_u64_u32 v[50:51], s[0:1], s2, v52, 0
	v_addc_co_u32_e32 v47, vcc, v41, v47, vcc
	global_store_dwordx4 v[46:47], v[0:3], off
	s_nop 0
	v_lshlrev_b64 v[0:1], 4, v[48:49]
	v_mov_b32_e32 v2, v51
	v_mad_u64_u32 v[2:3], s[0:1], s3, v52, v[2:3]
	v_add_co_u32_e32 v0, vcc, v40, v0
	v_addc_co_u32_e32 v1, vcc, v41, v1, vcc
	global_store_dwordx4 v[0:1], v[4:7], off
	v_mov_b32_e32 v51, v2
	v_add_u32_e32 v4, 0x128, v126
	v_mad_u64_u32 v[2:3], s[0:1], s2, v4, 0
	v_add_u32_e32 v6, 0x17c, v126
	v_lshlrev_b64 v[0:1], 4, v[50:51]
	v_mad_u64_u32 v[3:4], s[0:1], s3, v4, v[3:4]
	v_mad_u64_u32 v[4:5], s[0:1], s2, v6, 0
	v_add_co_u32_e32 v0, vcc, v40, v0
	v_addc_co_u32_e32 v1, vcc, v41, v1, vcc
	global_store_dwordx4 v[0:1], v[12:15], off
	v_lshlrev_b64 v[0:1], 4, v[2:3]
	v_mov_b32_e32 v2, v5
	v_mad_u64_u32 v[2:3], s[0:1], s3, v6, v[2:3]
	v_add_co_u32_e32 v0, vcc, v40, v0
	v_addc_co_u32_e32 v1, vcc, v41, v1, vcc
	v_mov_b32_e32 v5, v2
	global_store_dwordx4 v[0:1], v[20:23], off
	v_lshlrev_b64 v[0:1], 4, v[4:5]
	v_add_u32_e32 v4, 0x1d0, v126
	v_mad_u64_u32 v[2:3], s[0:1], s2, v4, 0
	v_add_u32_e32 v6, 0x224, v126
	v_add_co_u32_e32 v0, vcc, v40, v0
	v_mad_u64_u32 v[3:4], s[0:1], s3, v4, v[3:4]
	v_mad_u64_u32 v[4:5], s[0:1], s2, v6, 0
	v_addc_co_u32_e32 v1, vcc, v41, v1, vcc
	global_store_dwordx4 v[0:1], v[28:31], off
	v_lshlrev_b64 v[0:1], 4, v[2:3]
	v_mov_b32_e32 v2, v5
	v_mad_u64_u32 v[2:3], s[0:1], s3, v6, v[2:3]
	v_add_co_u32_e32 v0, vcc, v40, v0
	v_addc_co_u32_e32 v1, vcc, v41, v1, vcc
	v_mov_b32_e32 v5, v2
	global_store_dwordx4 v[0:1], v[36:39], off
	v_lshlrev_b64 v[0:1], 4, v[4:5]
	v_add_u32_e32 v4, 0x278, v126
	v_mad_u64_u32 v[2:3], s[0:1], s2, v4, 0
	v_add_u32_e32 v6, 0x2cc, v126
	v_add_co_u32_e32 v0, vcc, v40, v0
	v_mad_u64_u32 v[3:4], s[0:1], s3, v4, v[3:4]
	v_mad_u64_u32 v[4:5], s[0:1], s2, v6, 0
	;; [unrolled: 16-line block ×3, first 2 shown]
	v_addc_co_u32_e32 v1, vcc, v41, v1, vcc
	global_store_dwordx4 v[0:1], v[24:27], off
	v_lshlrev_b64 v[0:1], 4, v[2:3]
	v_mov_b32_e32 v2, v5
	v_mad_u64_u32 v[2:3], s[0:1], s3, v6, v[2:3]
	v_add_co_u32_e32 v0, vcc, v40, v0
	v_addc_co_u32_e32 v1, vcc, v41, v1, vcc
	v_mov_b32_e32 v5, v2
	global_store_dwordx4 v[0:1], v[16:19], off
	v_lshlrev_b64 v[0:1], 4, v[4:5]
	v_add_co_u32_e32 v0, vcc, v40, v0
	v_addc_co_u32_e32 v1, vcc, v41, v1, vcc
	global_store_dwordx4 v[0:1], v[8:11], off
.LBB0_34:
	s_endpgm
	.section	.rodata,"a",@progbits
	.p2align	6, 0x0
	.amdhsa_kernel fft_rtc_back_len924_factors_2_2_3_7_11_wgs_44_tpt_44_halfLds_dp_ip_CI_sbrr_dirReg
		.amdhsa_group_segment_fixed_size 0
		.amdhsa_private_segment_fixed_size 0
		.amdhsa_kernarg_size 88
		.amdhsa_user_sgpr_count 6
		.amdhsa_user_sgpr_private_segment_buffer 1
		.amdhsa_user_sgpr_dispatch_ptr 0
		.amdhsa_user_sgpr_queue_ptr 0
		.amdhsa_user_sgpr_kernarg_segment_ptr 1
		.amdhsa_user_sgpr_dispatch_id 0
		.amdhsa_user_sgpr_flat_scratch_init 0
		.amdhsa_user_sgpr_private_segment_size 0
		.amdhsa_uses_dynamic_stack 0
		.amdhsa_system_sgpr_private_segment_wavefront_offset 0
		.amdhsa_system_sgpr_workgroup_id_x 1
		.amdhsa_system_sgpr_workgroup_id_y 0
		.amdhsa_system_sgpr_workgroup_id_z 0
		.amdhsa_system_sgpr_workgroup_info 0
		.amdhsa_system_vgpr_workitem_id 0
		.amdhsa_next_free_vgpr 203
		.amdhsa_next_free_sgpr 40
		.amdhsa_reserve_vcc 1
		.amdhsa_reserve_flat_scratch 0
		.amdhsa_float_round_mode_32 0
		.amdhsa_float_round_mode_16_64 0
		.amdhsa_float_denorm_mode_32 3
		.amdhsa_float_denorm_mode_16_64 3
		.amdhsa_dx10_clamp 1
		.amdhsa_ieee_mode 1
		.amdhsa_fp16_overflow 0
		.amdhsa_exception_fp_ieee_invalid_op 0
		.amdhsa_exception_fp_denorm_src 0
		.amdhsa_exception_fp_ieee_div_zero 0
		.amdhsa_exception_fp_ieee_overflow 0
		.amdhsa_exception_fp_ieee_underflow 0
		.amdhsa_exception_fp_ieee_inexact 0
		.amdhsa_exception_int_div_zero 0
	.end_amdhsa_kernel
	.text
.Lfunc_end0:
	.size	fft_rtc_back_len924_factors_2_2_3_7_11_wgs_44_tpt_44_halfLds_dp_ip_CI_sbrr_dirReg, .Lfunc_end0-fft_rtc_back_len924_factors_2_2_3_7_11_wgs_44_tpt_44_halfLds_dp_ip_CI_sbrr_dirReg
                                        ; -- End function
	.section	.AMDGPU.csdata,"",@progbits
; Kernel info:
; codeLenInByte = 17704
; NumSgprs: 44
; NumVgprs: 203
; ScratchSize: 0
; MemoryBound: 1
; FloatMode: 240
; IeeeMode: 1
; LDSByteSize: 0 bytes/workgroup (compile time only)
; SGPRBlocks: 5
; VGPRBlocks: 50
; NumSGPRsForWavesPerEU: 44
; NumVGPRsForWavesPerEU: 203
; Occupancy: 1
; WaveLimiterHint : 1
; COMPUTE_PGM_RSRC2:SCRATCH_EN: 0
; COMPUTE_PGM_RSRC2:USER_SGPR: 6
; COMPUTE_PGM_RSRC2:TRAP_HANDLER: 0
; COMPUTE_PGM_RSRC2:TGID_X_EN: 1
; COMPUTE_PGM_RSRC2:TGID_Y_EN: 0
; COMPUTE_PGM_RSRC2:TGID_Z_EN: 0
; COMPUTE_PGM_RSRC2:TIDIG_COMP_CNT: 0
	.type	__hip_cuid_357352506a33071a,@object ; @__hip_cuid_357352506a33071a
	.section	.bss,"aw",@nobits
	.globl	__hip_cuid_357352506a33071a
__hip_cuid_357352506a33071a:
	.byte	0                               ; 0x0
	.size	__hip_cuid_357352506a33071a, 1

	.ident	"AMD clang version 19.0.0git (https://github.com/RadeonOpenCompute/llvm-project roc-6.4.0 25133 c7fe45cf4b819c5991fe208aaa96edf142730f1d)"
	.section	".note.GNU-stack","",@progbits
	.addrsig
	.addrsig_sym __hip_cuid_357352506a33071a
	.amdgpu_metadata
---
amdhsa.kernels:
  - .args:
      - .actual_access:  read_only
        .address_space:  global
        .offset:         0
        .size:           8
        .value_kind:     global_buffer
      - .offset:         8
        .size:           8
        .value_kind:     by_value
      - .actual_access:  read_only
        .address_space:  global
        .offset:         16
        .size:           8
        .value_kind:     global_buffer
      - .actual_access:  read_only
        .address_space:  global
        .offset:         24
        .size:           8
        .value_kind:     global_buffer
      - .offset:         32
        .size:           8
        .value_kind:     by_value
      - .actual_access:  read_only
        .address_space:  global
        .offset:         40
        .size:           8
        .value_kind:     global_buffer
      - .actual_access:  read_only
        .address_space:  global
        .offset:         48
        .size:           8
        .value_kind:     global_buffer
      - .offset:         56
        .size:           4
        .value_kind:     by_value
      - .actual_access:  read_only
        .address_space:  global
        .offset:         64
        .size:           8
        .value_kind:     global_buffer
      - .actual_access:  read_only
        .address_space:  global
        .offset:         72
        .size:           8
        .value_kind:     global_buffer
      - .address_space:  global
        .offset:         80
        .size:           8
        .value_kind:     global_buffer
    .group_segment_fixed_size: 0
    .kernarg_segment_align: 8
    .kernarg_segment_size: 88
    .language:       OpenCL C
    .language_version:
      - 2
      - 0
    .max_flat_workgroup_size: 44
    .name:           fft_rtc_back_len924_factors_2_2_3_7_11_wgs_44_tpt_44_halfLds_dp_ip_CI_sbrr_dirReg
    .private_segment_fixed_size: 0
    .sgpr_count:     44
    .sgpr_spill_count: 0
    .symbol:         fft_rtc_back_len924_factors_2_2_3_7_11_wgs_44_tpt_44_halfLds_dp_ip_CI_sbrr_dirReg.kd
    .uniform_work_group_size: 1
    .uses_dynamic_stack: false
    .vgpr_count:     203
    .vgpr_spill_count: 0
    .wavefront_size: 64
amdhsa.target:   amdgcn-amd-amdhsa--gfx906
amdhsa.version:
  - 1
  - 2
...

	.end_amdgpu_metadata
